;; amdgpu-corpus repo=ROCm/rocFFT kind=compiled arch=gfx1100 opt=O3
	.text
	.amdgcn_target "amdgcn-amd-amdhsa--gfx1100"
	.amdhsa_code_object_version 6
	.protected	fft_rtc_fwd_len595_factors_7_17_5_wgs_51_tpt_17_halfLds_sp_ip_CI_unitstride_sbrr_dirReg ; -- Begin function fft_rtc_fwd_len595_factors_7_17_5_wgs_51_tpt_17_halfLds_sp_ip_CI_unitstride_sbrr_dirReg
	.globl	fft_rtc_fwd_len595_factors_7_17_5_wgs_51_tpt_17_halfLds_sp_ip_CI_unitstride_sbrr_dirReg
	.p2align	8
	.type	fft_rtc_fwd_len595_factors_7_17_5_wgs_51_tpt_17_halfLds_sp_ip_CI_unitstride_sbrr_dirReg,@function
fft_rtc_fwd_len595_factors_7_17_5_wgs_51_tpt_17_halfLds_sp_ip_CI_unitstride_sbrr_dirReg: ; @fft_rtc_fwd_len595_factors_7_17_5_wgs_51_tpt_17_halfLds_sp_ip_CI_unitstride_sbrr_dirReg
; %bb.0:
	s_load_b128 s[4:7], s[0:1], 0x0
	v_mul_u32_u24_e32 v1, 0xf10, v0
	s_clause 0x1
	s_load_b64 s[8:9], s[0:1], 0x50
	s_load_b64 s[10:11], s[0:1], 0x18
	v_mov_b32_e32 v6, 0
	v_lshrrev_b32_e32 v1, 16, v1
	s_delay_alu instid0(VALU_DEP_1) | instskip(SKIP_1) | instid1(VALU_DEP_4)
	v_mad_u64_u32 v[4:5], null, s15, 3, v[1:2]
	v_mov_b32_e32 v1, 0
	v_dual_mov_b32 v5, v6 :: v_dual_mov_b32 v2, 0
	s_delay_alu instid0(VALU_DEP_1) | instskip(SKIP_2) | instid1(VALU_DEP_1)
	v_dual_mov_b32 v11, v5 :: v_dual_mov_b32 v10, v4
	s_waitcnt lgkmcnt(0)
	v_cmp_lt_u64_e64 s2, s[6:7], 2
	s_and_b32 vcc_lo, exec_lo, s2
	s_cbranch_vccnz .LBB0_8
; %bb.1:
	s_load_b64 s[2:3], s[0:1], 0x10
	v_mov_b32_e32 v1, 0
	v_dual_mov_b32 v2, 0 :: v_dual_mov_b32 v9, v5
	s_add_u32 s12, s10, 8
	v_mov_b32_e32 v8, v4
	s_addc_u32 s13, s11, 0
	s_mov_b64 s[16:17], 1
	s_waitcnt lgkmcnt(0)
	s_add_u32 s14, s2, 8
	s_addc_u32 s15, s3, 0
.LBB0_2:                                ; =>This Inner Loop Header: Depth=1
	s_load_b64 s[18:19], s[14:15], 0x0
                                        ; implicit-def: $vgpr10_vgpr11
	s_mov_b32 s2, exec_lo
	s_waitcnt lgkmcnt(0)
	v_or_b32_e32 v7, s19, v9
	s_delay_alu instid0(VALU_DEP_1)
	v_cmpx_ne_u64_e32 0, v[6:7]
	s_xor_b32 s3, exec_lo, s2
	s_cbranch_execz .LBB0_4
; %bb.3:                                ;   in Loop: Header=BB0_2 Depth=1
	v_cvt_f32_u32_e32 v3, s18
	v_cvt_f32_u32_e32 v5, s19
	s_sub_u32 s2, 0, s18
	s_subb_u32 s20, 0, s19
	s_delay_alu instid0(VALU_DEP_1) | instskip(NEXT) | instid1(VALU_DEP_1)
	v_fmac_f32_e32 v3, 0x4f800000, v5
	v_rcp_f32_e32 v3, v3
	s_waitcnt_depctr 0xfff
	v_mul_f32_e32 v3, 0x5f7ffffc, v3
	s_delay_alu instid0(VALU_DEP_1) | instskip(NEXT) | instid1(VALU_DEP_1)
	v_mul_f32_e32 v5, 0x2f800000, v3
	v_trunc_f32_e32 v5, v5
	s_delay_alu instid0(VALU_DEP_1) | instskip(SKIP_1) | instid1(VALU_DEP_2)
	v_fmac_f32_e32 v3, 0xcf800000, v5
	v_cvt_u32_f32_e32 v5, v5
	v_cvt_u32_f32_e32 v3, v3
	s_delay_alu instid0(VALU_DEP_2) | instskip(NEXT) | instid1(VALU_DEP_2)
	v_mul_lo_u32 v7, s2, v5
	v_mul_hi_u32 v10, s2, v3
	v_mul_lo_u32 v11, s20, v3
	s_delay_alu instid0(VALU_DEP_2) | instskip(SKIP_1) | instid1(VALU_DEP_2)
	v_add_nc_u32_e32 v7, v10, v7
	v_mul_lo_u32 v10, s2, v3
	v_add_nc_u32_e32 v7, v7, v11
	s_delay_alu instid0(VALU_DEP_2) | instskip(NEXT) | instid1(VALU_DEP_2)
	v_mul_hi_u32 v11, v3, v10
	v_mul_lo_u32 v12, v3, v7
	v_mul_hi_u32 v13, v3, v7
	v_mul_hi_u32 v14, v5, v10
	v_mul_lo_u32 v10, v5, v10
	v_mul_hi_u32 v15, v5, v7
	v_mul_lo_u32 v7, v5, v7
	v_add_co_u32 v11, vcc_lo, v11, v12
	v_add_co_ci_u32_e32 v12, vcc_lo, 0, v13, vcc_lo
	s_delay_alu instid0(VALU_DEP_2) | instskip(NEXT) | instid1(VALU_DEP_2)
	v_add_co_u32 v10, vcc_lo, v11, v10
	v_add_co_ci_u32_e32 v10, vcc_lo, v12, v14, vcc_lo
	v_add_co_ci_u32_e32 v11, vcc_lo, 0, v15, vcc_lo
	s_delay_alu instid0(VALU_DEP_2) | instskip(NEXT) | instid1(VALU_DEP_2)
	v_add_co_u32 v7, vcc_lo, v10, v7
	v_add_co_ci_u32_e32 v10, vcc_lo, 0, v11, vcc_lo
	s_delay_alu instid0(VALU_DEP_2) | instskip(NEXT) | instid1(VALU_DEP_2)
	v_add_co_u32 v3, vcc_lo, v3, v7
	v_add_co_ci_u32_e32 v5, vcc_lo, v5, v10, vcc_lo
	s_delay_alu instid0(VALU_DEP_2) | instskip(SKIP_1) | instid1(VALU_DEP_3)
	v_mul_hi_u32 v7, s2, v3
	v_mul_lo_u32 v11, s20, v3
	v_mul_lo_u32 v10, s2, v5
	s_delay_alu instid0(VALU_DEP_1) | instskip(SKIP_1) | instid1(VALU_DEP_2)
	v_add_nc_u32_e32 v7, v7, v10
	v_mul_lo_u32 v10, s2, v3
	v_add_nc_u32_e32 v7, v7, v11
	s_delay_alu instid0(VALU_DEP_2) | instskip(NEXT) | instid1(VALU_DEP_2)
	v_mul_hi_u32 v11, v3, v10
	v_mul_lo_u32 v12, v3, v7
	v_mul_hi_u32 v13, v3, v7
	v_mul_hi_u32 v14, v5, v10
	v_mul_lo_u32 v10, v5, v10
	v_mul_hi_u32 v15, v5, v7
	v_mul_lo_u32 v7, v5, v7
	v_add_co_u32 v11, vcc_lo, v11, v12
	v_add_co_ci_u32_e32 v12, vcc_lo, 0, v13, vcc_lo
	s_delay_alu instid0(VALU_DEP_2) | instskip(NEXT) | instid1(VALU_DEP_2)
	v_add_co_u32 v10, vcc_lo, v11, v10
	v_add_co_ci_u32_e32 v10, vcc_lo, v12, v14, vcc_lo
	v_add_co_ci_u32_e32 v11, vcc_lo, 0, v15, vcc_lo
	s_delay_alu instid0(VALU_DEP_2) | instskip(NEXT) | instid1(VALU_DEP_2)
	v_add_co_u32 v7, vcc_lo, v10, v7
	v_add_co_ci_u32_e32 v10, vcc_lo, 0, v11, vcc_lo
	s_delay_alu instid0(VALU_DEP_2) | instskip(NEXT) | instid1(VALU_DEP_2)
	v_add_co_u32 v3, vcc_lo, v3, v7
	v_add_co_ci_u32_e32 v5, vcc_lo, v5, v10, vcc_lo
	s_delay_alu instid0(VALU_DEP_2) | instskip(SKIP_1) | instid1(VALU_DEP_3)
	v_mul_hi_u32 v7, v8, v3
	v_mad_u64_u32 v[12:13], null, v9, v3, 0
	v_mad_u64_u32 v[10:11], null, v8, v5, 0
	v_mad_u64_u32 v[14:15], null, v9, v5, 0
	s_delay_alu instid0(VALU_DEP_2) | instskip(NEXT) | instid1(VALU_DEP_3)
	v_add_co_u32 v3, vcc_lo, v7, v10
	v_add_co_ci_u32_e32 v5, vcc_lo, 0, v11, vcc_lo
	s_delay_alu instid0(VALU_DEP_2) | instskip(NEXT) | instid1(VALU_DEP_2)
	v_add_co_u32 v3, vcc_lo, v3, v12
	v_add_co_ci_u32_e32 v3, vcc_lo, v5, v13, vcc_lo
	v_add_co_ci_u32_e32 v5, vcc_lo, 0, v15, vcc_lo
	s_delay_alu instid0(VALU_DEP_2) | instskip(NEXT) | instid1(VALU_DEP_2)
	v_add_co_u32 v3, vcc_lo, v3, v14
	v_add_co_ci_u32_e32 v5, vcc_lo, 0, v5, vcc_lo
	s_delay_alu instid0(VALU_DEP_2) | instskip(SKIP_1) | instid1(VALU_DEP_3)
	v_mul_lo_u32 v7, s19, v3
	v_mad_u64_u32 v[10:11], null, s18, v3, 0
	v_mul_lo_u32 v12, s18, v5
	s_delay_alu instid0(VALU_DEP_2) | instskip(NEXT) | instid1(VALU_DEP_2)
	v_sub_co_u32 v10, vcc_lo, v8, v10
	v_add3_u32 v7, v11, v12, v7
	s_delay_alu instid0(VALU_DEP_1) | instskip(NEXT) | instid1(VALU_DEP_1)
	v_sub_nc_u32_e32 v11, v9, v7
	v_subrev_co_ci_u32_e64 v11, s2, s19, v11, vcc_lo
	v_add_co_u32 v12, s2, v3, 2
	s_delay_alu instid0(VALU_DEP_1) | instskip(SKIP_3) | instid1(VALU_DEP_3)
	v_add_co_ci_u32_e64 v13, s2, 0, v5, s2
	v_sub_co_u32 v14, s2, v10, s18
	v_sub_co_ci_u32_e32 v7, vcc_lo, v9, v7, vcc_lo
	v_subrev_co_ci_u32_e64 v11, s2, 0, v11, s2
	v_cmp_le_u32_e32 vcc_lo, s18, v14
	s_delay_alu instid0(VALU_DEP_3) | instskip(SKIP_1) | instid1(VALU_DEP_4)
	v_cmp_eq_u32_e64 s2, s19, v7
	v_cndmask_b32_e64 v14, 0, -1, vcc_lo
	v_cmp_le_u32_e32 vcc_lo, s19, v11
	v_cndmask_b32_e64 v15, 0, -1, vcc_lo
	v_cmp_le_u32_e32 vcc_lo, s18, v10
	;; [unrolled: 2-line block ×3, first 2 shown]
	v_cndmask_b32_e64 v16, 0, -1, vcc_lo
	v_cmp_eq_u32_e32 vcc_lo, s19, v11
	s_delay_alu instid0(VALU_DEP_2) | instskip(SKIP_3) | instid1(VALU_DEP_3)
	v_cndmask_b32_e64 v7, v16, v10, s2
	v_cndmask_b32_e32 v11, v15, v14, vcc_lo
	v_add_co_u32 v14, vcc_lo, v3, 1
	v_add_co_ci_u32_e32 v15, vcc_lo, 0, v5, vcc_lo
	v_cmp_ne_u32_e32 vcc_lo, 0, v11
	s_delay_alu instid0(VALU_DEP_2) | instskip(NEXT) | instid1(VALU_DEP_4)
	v_cndmask_b32_e32 v10, v15, v13, vcc_lo
	v_cndmask_b32_e32 v12, v14, v12, vcc_lo
	v_cmp_ne_u32_e32 vcc_lo, 0, v7
	s_delay_alu instid0(VALU_DEP_2)
	v_dual_cndmask_b32 v11, v5, v10 :: v_dual_cndmask_b32 v10, v3, v12
.LBB0_4:                                ;   in Loop: Header=BB0_2 Depth=1
	s_and_not1_saveexec_b32 s2, s3
	s_cbranch_execz .LBB0_6
; %bb.5:                                ;   in Loop: Header=BB0_2 Depth=1
	v_cvt_f32_u32_e32 v3, s18
	s_sub_i32 s3, 0, s18
	v_mov_b32_e32 v11, v6
	s_delay_alu instid0(VALU_DEP_2) | instskip(SKIP_2) | instid1(VALU_DEP_1)
	v_rcp_iflag_f32_e32 v3, v3
	s_waitcnt_depctr 0xfff
	v_mul_f32_e32 v3, 0x4f7ffffe, v3
	v_cvt_u32_f32_e32 v3, v3
	s_delay_alu instid0(VALU_DEP_1) | instskip(NEXT) | instid1(VALU_DEP_1)
	v_mul_lo_u32 v5, s3, v3
	v_mul_hi_u32 v5, v3, v5
	s_delay_alu instid0(VALU_DEP_1) | instskip(NEXT) | instid1(VALU_DEP_1)
	v_add_nc_u32_e32 v3, v3, v5
	v_mul_hi_u32 v3, v8, v3
	s_delay_alu instid0(VALU_DEP_1) | instskip(SKIP_1) | instid1(VALU_DEP_2)
	v_mul_lo_u32 v5, v3, s18
	v_add_nc_u32_e32 v7, 1, v3
	v_sub_nc_u32_e32 v5, v8, v5
	s_delay_alu instid0(VALU_DEP_1) | instskip(SKIP_1) | instid1(VALU_DEP_4)
	v_cmp_le_u32_e32 vcc_lo, s18, v5
	v_subrev_nc_u32_e32 v10, s18, v5
	v_cndmask_b32_e32 v3, v3, v7, vcc_lo
	s_delay_alu instid0(VALU_DEP_1) | instskip(NEXT) | instid1(VALU_DEP_3)
	v_add_nc_u32_e32 v7, 1, v3
	v_cndmask_b32_e32 v5, v5, v10, vcc_lo
	s_delay_alu instid0(VALU_DEP_1) | instskip(NEXT) | instid1(VALU_DEP_3)
	v_cmp_le_u32_e32 vcc_lo, s18, v5
	v_cndmask_b32_e32 v10, v3, v7, vcc_lo
.LBB0_6:                                ;   in Loop: Header=BB0_2 Depth=1
	s_or_b32 exec_lo, exec_lo, s2
	s_load_b64 s[2:3], s[12:13], 0x0
	v_mul_lo_u32 v3, v11, s18
	s_delay_alu instid0(VALU_DEP_2)
	v_mul_lo_u32 v5, v10, s19
	v_mad_u64_u32 v[12:13], null, v10, s18, 0
	s_add_u32 s16, s16, 1
	s_addc_u32 s17, s17, 0
	s_add_u32 s12, s12, 8
	s_addc_u32 s13, s13, 0
	;; [unrolled: 2-line block ×3, first 2 shown]
	s_delay_alu instid0(VALU_DEP_1) | instskip(SKIP_1) | instid1(VALU_DEP_2)
	v_add3_u32 v3, v13, v5, v3
	v_sub_co_u32 v5, vcc_lo, v8, v12
	v_sub_co_ci_u32_e32 v3, vcc_lo, v9, v3, vcc_lo
	s_waitcnt lgkmcnt(0)
	s_delay_alu instid0(VALU_DEP_2) | instskip(NEXT) | instid1(VALU_DEP_2)
	v_mul_lo_u32 v9, s3, v5
	v_mul_lo_u32 v3, s2, v3
	v_mad_u64_u32 v[7:8], null, s2, v5, v[1:2]
	v_cmp_ge_u64_e64 s2, s[16:17], s[6:7]
	s_delay_alu instid0(VALU_DEP_1) | instskip(NEXT) | instid1(VALU_DEP_2)
	s_and_b32 vcc_lo, exec_lo, s2
	v_add3_u32 v2, v9, v8, v3
	s_delay_alu instid0(VALU_DEP_3)
	v_mov_b32_e32 v1, v7
	s_cbranch_vccnz .LBB0_8
; %bb.7:                                ;   in Loop: Header=BB0_2 Depth=1
	v_dual_mov_b32 v8, v10 :: v_dual_mov_b32 v9, v11
	s_branch .LBB0_2
.LBB0_8:
	s_lshl_b64 s[2:3], s[6:7], 3
	s_load_b64 s[0:1], s[0:1], 0x20
	s_add_u32 s2, s10, s2
	s_addc_u32 s3, s11, s3
	v_mul_hi_u32 v3, 0xf0f0f10, v0
	s_load_b64 s[2:3], s[2:3], 0x0
	v_mov_b32_e32 v106, 0
	v_mov_b32_e32 v107, 0
	s_delay_alu instid0(VALU_DEP_2) | instskip(SKIP_2) | instid1(VALU_DEP_4)
	v_mov_b32_e32 v104, v106
	v_mov_b32_e32 v92, v106
	;; [unrolled: 1-line block ×3, first 2 shown]
	v_dual_mov_b32 v96, v106 :: v_dual_mov_b32 v97, v107
	v_dual_mov_b32 v113, v107 :: v_dual_mov_b32 v112, v106
	;; [unrolled: 1-line block ×3, first 2 shown]
	v_mov_b32_e32 v105, v107
	v_mov_b32_e32 v93, v107
	v_dual_mov_b32 v91, v107 :: v_dual_mov_b32 v88, v106
	v_mov_b32_e32 v89, v107
	s_waitcnt lgkmcnt(0)
	v_cmp_gt_u64_e32 vcc_lo, s[0:1], v[10:11]
	v_dual_mov_b32 v69, v106 :: v_dual_mov_b32 v70, v107
	v_mul_lo_u32 v7, s2, v11
	v_mul_lo_u32 v8, s3, v10
	v_mad_u64_u32 v[5:6], null, s2, v10, v[1:2]
	v_mul_u32_u24_e32 v1, 17, v3
	v_dual_mov_b32 v79, v106 :: v_dual_mov_b32 v80, v107
	v_dual_mov_b32 v81, v106 :: v_dual_mov_b32 v82, v107
	;; [unrolled: 1-line block ×3, first 2 shown]
	v_add3_u32 v6, v8, v6, v7
	v_dual_mov_b32 v58, v106 :: v_dual_mov_b32 v59, v107
	v_dual_mov_b32 v60, v106 :: v_dual_mov_b32 v61, v107
	s_delay_alu instid0(VALU_DEP_3)
	v_lshlrev_b64 v[24:25], 3, v[5:6]
	v_dual_mov_b32 v64, v106 :: v_dual_mov_b32 v65, v107
	v_dual_mov_b32 v52, v106 :: v_dual_mov_b32 v53, v107
	;; [unrolled: 1-line block ×4, first 2 shown]
	v_sub_nc_u32_e32 v26, v0, v1
	v_dual_mov_b32 v50, v106 :: v_dual_mov_b32 v51, v107
	v_dual_mov_b32 v0, v106 :: v_dual_mov_b32 v1, v107
                                        ; implicit-def: $vgpr115
                                        ; implicit-def: $vgpr117
                                        ; implicit-def: $vgpr119
                                        ; implicit-def: $vgpr95
                                        ; implicit-def: $vgpr84
                                        ; implicit-def: $vgpr99
                                        ; implicit-def: $vgpr78
                                        ; implicit-def: $vgpr63
                                        ; implicit-def: $vgpr57
                                        ; implicit-def: $vgpr55
                                        ; implicit-def: $vgpr76
                                        ; implicit-def: $vgpr72
                                        ; implicit-def: $vgpr103
                                        ; implicit-def: $vgpr101
                                        ; implicit-def: $vgpr111
	s_and_saveexec_b32 s1, vcc_lo
	s_cbranch_execz .LBB0_10
; %bb.9:
	v_mov_b32_e32 v27, 0
	v_add_co_u32 v9, s0, s8, v24
	s_delay_alu instid0(VALU_DEP_1) | instskip(NEXT) | instid1(VALU_DEP_3)
	v_add_co_ci_u32_e64 v10, s0, s9, v25, s0
	v_lshlrev_b64 v[0:1], 3, v[26:27]
	v_or_b32_e32 v2, 0x220, v26
	v_mov_b32_e32 v3, v27
	s_delay_alu instid0(VALU_DEP_3) | instskip(NEXT) | instid1(VALU_DEP_1)
	v_add_co_u32 v5, s0, v9, v0
	v_add_co_ci_u32_e64 v6, s0, v10, v1, s0
	s_delay_alu instid0(VALU_DEP_3) | instskip(NEXT) | instid1(VALU_DEP_3)
	v_lshlrev_b64 v[0:1], 3, v[2:3]
	v_add_co_u32 v7, s0, 0x1000, v5
	s_delay_alu instid0(VALU_DEP_1)
	v_add_co_ci_u32_e64 v8, s0, 0, v6, s0
	s_clause 0x5
	global_load_b64 v[90:91], v[5:6], off offset:1496
	global_load_b64 v[92:93], v[5:6], off offset:816
	global_load_b64 v[69:70], v[5:6], off offset:952
	global_load_b64 v[102:103], v[7:8], off offset:120
	global_load_b64 v[100:101], v[5:6], off offset:3536
	global_load_b64 v[83:84], v[5:6], off offset:3672
	v_add_co_u32 v9, s0, v9, v0
	s_delay_alu instid0(VALU_DEP_1)
	v_add_co_ci_u32_e64 v10, s0, v10, v1, s0
	s_clause 0x1c
	global_load_b64 v[104:105], v[5:6], off
	global_load_b64 v[88:89], v[5:6], off offset:136
	global_load_b64 v[67:68], v[5:6], off offset:272
	;; [unrolled: 1-line block ×26, first 2 shown]
	global_load_b64 v[98:99], v[9:10], off
	global_load_b64 v[62:63], v[7:8], off offset:528
.LBB0_10:
	s_or_b32 exec_lo, exec_lo, s1
	v_mul_hi_u32 v5, 0xaaaaaaab, v4
	s_waitcnt vmcnt(16)
	v_dual_add_f32 v6, v75, v58 :: v_dual_sub_f32 v9, v61, v72
	s_waitcnt vmcnt(3)
	v_dual_sub_f32 v7, v59, v76 :: v_dual_add_f32 v12, v118, v106
	v_dual_add_f32 v8, v71, v60 :: v_dual_sub_f32 v11, v65, v78
	v_add_f32_e32 v10, v77, v64
	v_lshrrev_b32_e32 v5, 1, v5
	v_dual_add_f32 v17, v114, v108 :: v_dual_sub_f32 v28, v107, v119
	s_delay_alu instid0(VALU_DEP_4) | instskip(NEXT) | instid1(VALU_DEP_3)
	v_dual_add_f32 v13, v6, v8 :: v_dual_sub_f32 v14, v8, v6
	v_lshl_add_u32 v5, v5, 1, v5
	v_dual_add_f32 v15, v9, v11 :: v_dual_sub_f32 v16, v11, v9
	v_dual_sub_f32 v11, v7, v11 :: v_dual_sub_f32 v6, v6, v10
	v_sub_f32_e32 v9, v9, v7
	s_delay_alu instid0(VALU_DEP_4) | instskip(SKIP_1) | instid1(VALU_DEP_4)
	v_sub_nc_u32_e32 v4, v4, v5
	v_dual_sub_f32 v8, v10, v8 :: v_dual_add_f32 v5, v13, v10
	v_dual_add_f32 v7, v7, v15 :: v_dual_mul_f32 v10, 0x3f4a47b2, v6
	s_delay_alu instid0(VALU_DEP_3) | instskip(SKIP_2) | instid1(VALU_DEP_4)
	v_mul_u32_u24_e32 v4, 0x253, v4
	v_mul_f32_e32 v15, 0x3f5ff5aa, v9
	v_dual_sub_f32 v33, v91, v101 :: v_dual_sub_f32 v36, v93, v103
	v_fma_f32 v10, 0xbf3bfb3b, v14, -v10
	s_delay_alu instid0(VALU_DEP_4)
	v_lshlrev_b32_e32 v121, 2, v4
	v_mul_f32_e32 v13, 0xbf08b237, v16
	v_add_f32_e32 v16, v5, v52
	v_cmp_eq_u32_e64 s0, 0, v26
	v_sub_f32_e32 v22, v113, v117
	v_add_nc_u32_e32 v122, 0, v121
	v_fma_f32 v4, 0x3f5ff5aa, v9, -v13
	v_fma_f32 v9, 0xbeae86e6, v11, -v15
	v_add_f32_e32 v15, v116, v112
	v_mul_f32_e32 v8, 0x3d64c772, v8
	v_mad_u32_u24 v52, v26, 28, v122
	v_fmac_f32_e32 v4, 0x3ee1c552, v7
	v_fmac_f32_e32 v9, 0x3ee1c552, v7
	v_fmamk_f32 v5, v5, 0xbf955555, v16
	v_add_f32_e32 v21, v12, v15
	v_fma_f32 v14, 0x3f3bfb3b, v14, -v8
	v_dual_sub_f32 v27, v109, v115 :: v_dual_add_nc_u32 v20, 0x59c, v52
	s_delay_alu instid0(VALU_DEP_4) | instskip(SKIP_2) | instid1(VALU_DEP_3)
	v_dual_add_f32 v10, v10, v5 :: v_dual_sub_f32 v23, v15, v12
	v_sub_f32_e32 v15, v17, v15
	v_add_nc_u32_e32 v123, 0x594, v52
	v_dual_add_f32 v18, v10, v9 :: v_dual_add_nc_u32 v129, 0x1dc, v52
	v_add_f32_e32 v14, v14, v5
	v_sub_f32_e32 v12, v12, v17
	v_add_f32_e32 v17, v21, v17
	v_add_f32_e32 v21, v22, v27
	v_sub_f32_e32 v29, v27, v22
	v_sub_f32_e32 v19, v14, v4
	;; [unrolled: 1-line block ×4, first 2 shown]
	v_add_f32_e32 v21, v28, v21
	v_dual_sub_f32 v27, v28, v27 :: v_dual_mul_f32 v28, 0x3f4a47b2, v12
	v_add_f32_e32 v30, v17, v104
	v_add_nc_u32_e32 v128, 0x3b8, v52
	v_add_nc_u32_e32 v127, 0x770, v52
                                        ; implicit-def: $vgpr136
	v_sub_f32_e32 v34, v97, v111
	s_waitcnt vmcnt(2)
	v_dual_add_f32 v10, v56, v48 :: v_dual_fmamk_f32 v17, v17, 0xbf955555, v30
	v_mul_f32_e32 v15, 0x3d64c772, v15
	v_fmamk_f32 v6, v6, 0x3f4a47b2, v8
	v_dual_sub_f32 v37, v34, v33 :: v_dual_add_f32 v38, v33, v34
	v_sub_f32_e32 v34, v36, v34
	s_delay_alu instid0(VALU_DEP_4) | instskip(SKIP_1) | instid1(VALU_DEP_4)
	v_fmamk_f32 v12, v12, 0x3f4a47b2, v15
	v_mul_f32_e32 v29, 0xbf08b237, v29
	v_dual_mul_f32 v37, 0xbf08b237, v37 :: v_dual_add_f32 v38, v36, v38
	s_delay_alu instid0(VALU_DEP_3) | instskip(SKIP_4) | instid1(VALU_DEP_4)
	v_dual_sub_f32 v33, v33, v36 :: v_dual_add_f32 v12, v12, v17
	v_fma_f32 v15, 0x3f3bfb3b, v23, -v15
	v_fma_f32 v23, 0xbf3bfb3b, v23, -v28
	v_fmamk_f32 v28, v27, 0x3eae86e6, v29
	v_dual_fmamk_f32 v8, v11, 0x3eae86e6, v13 :: v_dual_add_f32 v5, v6, v5
	v_add_f32_e32 v15, v15, v17
	s_delay_alu instid0(VALU_DEP_4)
	v_dual_add_f32 v17, v23, v17 :: v_dual_fmamk_f32 v42, v34, 0x3eae86e6, v37
	v_add_f32_e32 v23, v110, v96
	v_mul_f32_e32 v31, 0x3f5ff5aa, v22
	v_fmac_f32_e32 v28, 0x3ee1c552, v21
	v_fma_f32 v22, 0x3f5ff5aa, v22, -v29
	v_add_f32_e32 v29, v102, v92
	v_add_f32_e32 v14, v14, v4
	v_fma_f32 v27, 0xbeae86e6, v27, -v31
	s_waitcnt vmcnt(0)
	v_add_f32_e32 v4, v62, v2
	v_fmac_f32_e32 v22, 0x3ee1c552, v21
	s_delay_alu instid0(VALU_DEP_3) | instskip(NEXT) | instid1(VALU_DEP_1)
	v_dual_fmac_f32 v8, 0x3ee1c552, v7 :: v_dual_fmac_f32 v27, 0x3ee1c552, v21
	v_dual_add_f32 v31, v100, v90 :: v_dual_add_f32 v40, v17, v27
	s_delay_alu instid0(VALU_DEP_1) | instskip(SKIP_1) | instid1(VALU_DEP_2)
	v_dual_add_f32 v32, v29, v31 :: v_dual_sub_f32 v43, v15, v22
	v_dual_fmac_f32 v42, 0x3ee1c552, v38 :: v_dual_sub_f32 v35, v29, v23
	v_dual_sub_f32 v29, v31, v29 :: v_dual_add_f32 v32, v32, v23
	s_delay_alu instid0(VALU_DEP_1) | instskip(NEXT) | instid1(VALU_DEP_1)
	v_add_f32_e32 v39, v32, v88
	v_dual_fmamk_f32 v32, v32, 0xbf955555, v39 :: v_dual_sub_f32 v23, v23, v31
	s_delay_alu instid0(VALU_DEP_4) | instskip(SKIP_2) | instid1(VALU_DEP_4)
	v_mul_f32_e32 v31, 0x3f4a47b2, v35
	v_sub_f32_e32 v17, v17, v27
	v_mul_f32_e32 v27, 0x3f5ff5aa, v33
	v_mul_f32_e32 v23, 0x3d64c772, v23
	s_delay_alu instid0(VALU_DEP_2) | instskip(NEXT) | instid1(VALU_DEP_2)
	v_fma_f32 v27, 0xbeae86e6, v34, -v27
	v_fmamk_f32 v41, v35, 0x3f4a47b2, v23
	v_fma_f32 v23, 0x3f3bfb3b, v29, -v23
	v_fma_f32 v29, 0xbf3bfb3b, v29, -v31
	;; [unrolled: 1-line block ×3, first 2 shown]
	v_fmac_f32_e32 v27, 0x3ee1c552, v38
	s_delay_alu instid0(VALU_DEP_2) | instskip(SKIP_4) | instid1(VALU_DEP_1)
	v_fmac_f32_e32 v31, 0x3ee1c552, v38
	v_add_f32_e32 v21, v12, v28
	v_sub_f32_e32 v12, v12, v28
	v_add_f32_e32 v28, v83, v79
	v_dual_add_f32 v15, v15, v22 :: v_dual_add_f32 v22, v41, v32
	v_add_f32_e32 v35, v22, v42
	ds_store_2addr_b32 v52, v30, v21 offset1:1
	ds_store_2addr_b32 v52, v40, v43 offset0:2 offset1:3
	ds_store_2addr_b32 v52, v15, v17 offset0:4 offset1:5
	;; [unrolled: 1-line block ×3, first 2 shown]
	v_add_f32_e32 v15, v23, v32
	v_dual_sub_f32 v21, v22, v42 :: v_dual_sub_f32 v30, v80, v84
	s_delay_alu instid0(VALU_DEP_2)
	v_dual_add_f32 v23, v98, v69 :: v_dual_sub_f32 v22, v15, v31
	v_add_f32_e32 v15, v15, v31
	v_sub_f32_e32 v31, v82, v95
	ds_store_2addr_b32 v52, v12, v21 offset0:6 offset1:125
	v_dual_add_f32 v12, v94, v81 :: v_dual_add_f32 v21, v23, v28
	v_sub_f32_e32 v33, v31, v30
	s_delay_alu instid0(VALU_DEP_1) | instskip(SKIP_1) | instid1(VALU_DEP_1)
	v_mul_f32_e32 v33, 0xbf08b237, v33
	v_dual_add_f32 v17, v29, v32 :: v_dual_sub_f32 v32, v70, v99
	v_add_f32_e32 v29, v17, v27
	v_sub_f32_e32 v17, v17, v27
	v_sub_f32_e32 v27, v28, v23
	;; [unrolled: 1-line block ×4, first 2 shown]
	v_dual_add_f32 v12, v21, v12 :: v_dual_add_f32 v21, v30, v31
	v_dual_sub_f32 v30, v30, v32 :: v_dual_sub_f32 v31, v32, v31
	s_delay_alu instid0(VALU_DEP_3) | instskip(NEXT) | instid1(VALU_DEP_3)
	v_mul_f32_e32 v28, 0x3d64c772, v28
	v_add_f32_e32 v34, v12, v67
	s_delay_alu instid0(VALU_DEP_4) | instskip(NEXT) | instid1(VALU_DEP_4)
	v_dual_add_f32 v21, v32, v21 :: v_dual_mul_f32 v32, 0x3f4a47b2, v23
	v_mul_f32_e32 v35, 0x3f5ff5aa, v30
	s_delay_alu instid0(VALU_DEP_4)
	v_fmamk_f32 v23, v23, 0x3f4a47b2, v28
	v_fma_f32 v28, 0x3f3bfb3b, v27, -v28
	v_fmamk_f32 v12, v12, 0xbf955555, v34
	v_fma_f32 v30, 0x3f5ff5aa, v30, -v33
	v_fma_f32 v27, 0xbf3bfb3b, v27, -v32
	v_fmamk_f32 v32, v31, 0x3eae86e6, v33
	s_delay_alu instid0(VALU_DEP_4) | instskip(NEXT) | instid1(VALU_DEP_4)
	v_add_f32_e32 v28, v28, v12
	v_fmac_f32_e32 v30, 0x3ee1c552, v21
	s_delay_alu instid0(VALU_DEP_1) | instskip(SKIP_4) | instid1(VALU_DEP_3)
	v_sub_f32_e32 v11, v28, v30
	v_dual_add_f32 v13, v28, v30 :: v_dual_sub_f32 v30, v51, v55
	v_dual_add_f32 v23, v23, v12 :: v_dual_fmac_f32 v32, 0x3ee1c552, v21
	v_dual_add_f32 v12, v27, v12 :: v_dual_sub_f32 v27, v49, v57
	v_add_f32_e32 v28, v4, v10
	v_add_f32_e32 v6, v23, v32
	v_sub_f32_e32 v7, v23, v32
	v_add_f32_e32 v23, v5, v8
	v_dual_sub_f32 v5, v5, v8 :: v_dual_add_f32 v8, v54, v50
	v_fma_f32 v31, 0xbeae86e6, v31, -v35
	s_delay_alu instid0(VALU_DEP_1) | instskip(NEXT) | instid1(VALU_DEP_1)
	v_dual_sub_f32 v32, v3, v63 :: v_dual_fmac_f32 v31, 0x3ee1c552, v21
	v_add_f32_e32 v21, v12, v31
	v_dual_sub_f32 v12, v12, v31 :: v_dual_sub_f32 v31, v10, v4
	v_sub_f32_e32 v4, v4, v8
	v_sub_f32_e32 v10, v8, v10
	v_add_f32_e32 v8, v28, v8
	v_add_f32_e32 v28, v27, v30
	s_delay_alu instid0(VALU_DEP_3) | instskip(NEXT) | instid1(VALU_DEP_3)
	v_mul_f32_e32 v10, 0x3d64c772, v10
	v_add_f32_e32 v0, v8, v0
	s_delay_alu instid0(VALU_DEP_3) | instskip(NEXT) | instid1(VALU_DEP_2)
	v_add_f32_e32 v28, v32, v28
	v_dual_fmamk_f32 v8, v8, 0xbf955555, v0 :: v_dual_sub_f32 v33, v30, v27
	v_dual_sub_f32 v30, v32, v30 :: v_dual_sub_f32 v27, v27, v32
	v_mul_f32_e32 v32, 0x3f4a47b2, v4
	v_fmamk_f32 v4, v4, 0x3f4a47b2, v10
	v_fma_f32 v10, 0x3f3bfb3b, v31, -v10
	ds_store_2addr_b32 v52, v29, v22 offset0:121 offset1:122
	ds_store_2addr_b32 v52, v15, v17 offset0:123 offset1:124
	;; [unrolled: 1-line block ×4, first 2 shown]
	v_add_nc_u32_e32 v6, 0x5a4, v52
	v_fma_f32 v31, 0xbf3bfb3b, v31, -v32
	v_dual_add_f32 v4, v4, v8 :: v_dual_mul_f32 v33, 0xbf08b237, v33
	v_add_f32_e32 v10, v10, v8
	v_add_nc_u32_e32 v17, 0x200, v52
	s_delay_alu instid0(VALU_DEP_4) | instskip(NEXT) | instid1(VALU_DEP_4)
	v_add_f32_e32 v8, v31, v8
	v_fmamk_f32 v32, v30, 0x3eae86e6, v33
	ds_store_2addr_b32 v6, v14, v9 offset1:1
	ds_store_2addr_b32 v52, v13, v12 offset0:242 offset1:243
	v_add_nc_u32_e32 v6, 0x77c, v52
                                        ; implicit-def: $vgpr14
                                        ; implicit-def: $vgpr12
	v_fmac_f32_e32 v32, 0x3ee1c552, v28
	v_mul_f32_e32 v35, 0x3f5ff5aa, v27
	v_fma_f32 v27, 0x3f5ff5aa, v27, -v33
	s_delay_alu instid0(VALU_DEP_3) | instskip(SKIP_1) | instid1(VALU_DEP_4)
	v_add_f32_e32 v15, v4, v32
	v_sub_f32_e32 v4, v4, v32
	v_fma_f32 v30, 0xbeae86e6, v30, -v35
	s_delay_alu instid0(VALU_DEP_4) | instskip(NEXT) | instid1(VALU_DEP_2)
	v_fmac_f32_e32 v27, 0x3ee1c552, v28
	v_fmac_f32_e32 v30, 0x3ee1c552, v28
	s_delay_alu instid0(VALU_DEP_2)
	v_sub_f32_e32 v28, v10, v27
	v_dual_add_f32 v10, v10, v27 :: v_dual_lshlrev_b32 v27, 2, v26
	ds_store_2addr_b32 v17, v7, v5 offset0:116 offset1:235
	v_add_f32_e32 v11, v8, v30
	v_dual_sub_f32 v8, v8, v30 :: v_dual_add_nc_u32 v5, 0x774, v52
	v_add3_u32 v120, 0, v27, v121
	v_add_nc_u32_e32 v104, v122, v27
	v_add_nc_u32_e32 v7, 0x784, v52
	ds_store_2addr_b32 v20, v18, v19 offset1:1
	ds_store_2addr_b32 v123, v16, v23 offset1:1
	ds_store_b32 v52, v0 offset:1904
	ds_store_2addr_b32 v5, v15, v11 offset1:1
	ds_store_2addr_b32 v6, v28, v10 offset1:1
	;; [unrolled: 1-line block ×3, first 2 shown]
	s_waitcnt lgkmcnt(0)
	s_barrier
	buffer_gl0_inv
	ds_load_2addr_b32 v[6:7], v120 offset0:17 offset1:35
	v_add_nc_u32_e32 v124, 0x400, v120
	v_add_nc_u32_e32 v125, 0x600, v120
	v_add_nc_u32_e32 v126, 0x800, v120
	ds_load_b32 v134, v104
	ds_load_b32 v135, v120 offset:2308
	ds_load_2addr_b32 v[87:88], v120 offset0:52 offset1:70
	ds_load_2addr_b32 v[85:86], v120 offset0:87 offset1:105
	;; [unrolled: 1-line block ×15, first 2 shown]
                                        ; implicit-def: $vgpr20
                                        ; implicit-def: $vgpr18
                                        ; implicit-def: $vgpr11
                                        ; implicit-def: $vgpr17
                                        ; implicit-def: $vgpr23
	s_and_saveexec_b32 s1, s0
	s_cbranch_execz .LBB0_12
; %bb.11:
	v_add_nc_u32_e32 v0, 0x200, v122
	v_add_nc_u32_e32 v10, 0x400, v122
	;; [unrolled: 1-line block ×3, first 2 shown]
	ds_load_2addr_b32 v[4:5], v122 offset0:34 offset1:69
	ds_load_2addr_b32 v[14:15], v122 offset0:104 offset1:139
	;; [unrolled: 1-line block ×8, first 2 shown]
	ds_load_b32 v136, v122 offset:2376
.LBB0_12:
	s_or_b32 exec_lo, exec_lo, s1
	v_dual_add_f32 v0, v119, v107 :: v_dual_add_f32 v107, v117, v113
	v_dual_sub_f32 v106, v106, v118 :: v_dual_add_f32 v109, v115, v109
	v_dual_sub_f32 v112, v112, v116 :: v_dual_add_f32 v93, v103, v93
	v_sub_f32_e32 v96, v96, v110
	s_delay_alu instid0(VALU_DEP_4) | instskip(SKIP_3) | instid1(VALU_DEP_4)
	v_add_f32_e32 v113, v0, v107
	v_sub_f32_e32 v108, v108, v114
	v_dual_sub_f32 v114, v107, v0 :: v_dual_sub_f32 v107, v109, v107
	v_sub_f32_e32 v0, v0, v109
	v_add_f32_e32 v109, v113, v109
	s_delay_alu instid0(VALU_DEP_4) | instskip(SKIP_2) | instid1(VALU_DEP_4)
	v_add_f32_e32 v115, v112, v108
	v_sub_f32_e32 v113, v108, v112
	v_dual_sub_f32 v108, v106, v108 :: v_dual_mul_f32 v107, 0x3d64c772, v107
	v_dual_add_f32 v105, v109, v105 :: v_dual_sub_f32 v112, v112, v106
	s_delay_alu instid0(VALU_DEP_4) | instskip(SKIP_1) | instid1(VALU_DEP_3)
	v_dual_add_f32 v106, v106, v115 :: v_dual_mul_f32 v115, 0x3f4a47b2, v0
	v_dual_add_f32 v61, v72, v61 :: v_dual_sub_f32 v58, v58, v75
	v_fmamk_f32 v109, v109, 0xbf955555, v105
	v_fmamk_f32 v0, v0, 0x3f4a47b2, v107
	v_fma_f32 v107, 0x3f3bfb3b, v114, -v107
	v_mul_f32_e32 v116, 0x3f5ff5aa, v112
	v_fma_f32 v114, 0xbf3bfb3b, v114, -v115
	v_sub_f32_e32 v64, v64, v77
	v_add_f32_e32 v0, v0, v109
	v_mul_f32_e32 v113, 0xbf08b237, v113
	v_add_f32_e32 v107, v107, v109
	v_add_f32_e32 v109, v114, v109
	v_dual_sub_f32 v90, v90, v100 :: v_dual_add_f32 v91, v101, v91
	s_delay_alu instid0(VALU_DEP_4)
	v_fmamk_f32 v115, v108, 0x3eae86e6, v113
	v_fma_f32 v112, 0x3f5ff5aa, v112, -v113
	v_fma_f32 v108, 0xbeae86e6, v108, -v116
	v_add_f32_e32 v59, v76, v59
	v_sub_f32_e32 v60, v60, v71
	v_sub_f32_e32 v92, v92, v102
	v_add_f32_e32 v102, v90, v96
	v_fmac_f32_e32 v108, 0x3ee1c552, v106
	v_dual_fmac_f32 v112, 0x3ee1c552, v106 :: v_dual_add_f32 v97, v111, v97
	v_dual_add_f32 v100, v93, v91 :: v_dual_sub_f32 v101, v91, v93
	s_delay_alu instid0(VALU_DEP_2) | instskip(SKIP_1) | instid1(VALU_DEP_4)
	v_dual_sub_f32 v113, v109, v108 :: v_dual_add_f32 v114, v112, v107
	v_sub_f32_e32 v107, v107, v112
	v_sub_f32_e32 v93, v93, v97
	;; [unrolled: 1-line block ×3, first 2 shown]
	v_add_f32_e32 v97, v100, v97
	v_sub_f32_e32 v100, v96, v90
	v_dual_sub_f32 v90, v90, v92 :: v_dual_fmac_f32 v115, 0x3ee1c552, v106
	s_delay_alu instid0(VALU_DEP_4) | instskip(NEXT) | instid1(VALU_DEP_3)
	v_dual_sub_f32 v96, v92, v96 :: v_dual_mul_f32 v91, 0x3d64c772, v91
	v_mul_f32_e32 v100, 0xbf08b237, v100
	v_dual_add_f32 v92, v92, v102 :: v_dual_add_f32 v89, v97, v89
	s_delay_alu instid0(VALU_DEP_4) | instskip(NEXT) | instid1(VALU_DEP_4)
	v_mul_f32_e32 v103, 0x3f5ff5aa, v90
	v_dual_mul_f32 v102, 0x3f4a47b2, v93 :: v_dual_fmamk_f32 v93, v93, 0x3f4a47b2, v91
	s_delay_alu instid0(VALU_DEP_4) | instskip(SKIP_2) | instid1(VALU_DEP_4)
	v_fma_f32 v90, 0x3f5ff5aa, v90, -v100
	v_fma_f32 v91, 0x3f3bfb3b, v101, -v91
	v_sub_f32_e32 v69, v69, v98
	v_fma_f32 v101, 0xbf3bfb3b, v101, -v102
	v_sub_f32_e32 v106, v0, v115
	v_fmac_f32_e32 v90, 0x3ee1c552, v92
	v_fmamk_f32 v97, v97, 0xbf955555, v89
	v_fmamk_f32 v102, v96, 0x3eae86e6, v100
	v_add_f32_e32 v100, v115, v0
	v_fma_f32 v96, 0xbeae86e6, v96, -v103
	s_delay_alu instid0(VALU_DEP_4) | instskip(NEXT) | instid1(VALU_DEP_4)
	v_dual_sub_f32 v72, v61, v59 :: v_dual_add_f32 v91, v91, v97
	v_fmac_f32_e32 v102, 0x3ee1c552, v92
	v_add_f32_e32 v0, v99, v70
	s_delay_alu instid0(VALU_DEP_4) | instskip(SKIP_4) | instid1(VALU_DEP_3)
	v_fmac_f32_e32 v96, 0x3ee1c552, v92
	v_add_f32_e32 v92, v108, v109
	v_dual_add_f32 v108, v90, v91 :: v_dual_add_f32 v93, v93, v97
	v_dual_add_f32 v97, v101, v97 :: v_dual_sub_f32 v90, v91, v90
	v_dual_add_f32 v70, v84, v80 :: v_dual_sub_f32 v79, v79, v83
	v_sub_f32_e32 v101, v93, v102
	s_delay_alu instid0(VALU_DEP_3) | instskip(NEXT) | instid1(VALU_DEP_3)
	v_dual_sub_f32 v103, v97, v96 :: v_dual_add_f32 v80, v95, v82
	v_sub_f32_e32 v83, v70, v0
	v_sub_f32_e32 v81, v81, v94
	v_add_f32_e32 v82, v0, v70
	v_sub_f32_e32 v2, v2, v62
	v_sub_f32_e32 v0, v0, v80
	;; [unrolled: 1-line block ×3, first 2 shown]
	v_add_f32_e32 v84, v79, v81
	v_add_f32_e32 v80, v82, v80
	v_dual_sub_f32 v82, v81, v79 :: v_dual_sub_f32 v79, v79, v69
	s_delay_alu instid0(VALU_DEP_4) | instskip(NEXT) | instid1(VALU_DEP_2)
	v_dual_sub_f32 v81, v69, v81 :: v_dual_mul_f32 v70, 0x3d64c772, v70
	v_dual_add_f32 v71, v59, v61 :: v_dual_mul_f32 v82, 0xbf08b237, v82
	s_delay_alu instid0(VALU_DEP_3)
	v_mul_f32_e32 v91, 0x3f5ff5aa, v79
	v_add_f32_e32 v69, v69, v84
	v_mul_f32_e32 v84, 0x3f4a47b2, v0
	v_fmamk_f32 v0, v0, 0x3f4a47b2, v70
	v_fma_f32 v70, 0x3f3bfb3b, v83, -v70
	v_fma_f32 v79, 0x3f5ff5aa, v79, -v82
	v_add_f32_e32 v65, v78, v65
	v_fma_f32 v83, 0xbf3bfb3b, v83, -v84
	v_fmamk_f32 v84, v81, 0x3eae86e6, v82
	v_fma_f32 v81, 0xbeae86e6, v81, -v91
	v_fmac_f32_e32 v79, 0x3ee1c552, v69
	v_sub_f32_e32 v61, v65, v61
	v_sub_f32_e32 v59, v59, v65
	v_add_f32_e32 v65, v71, v65
	v_dual_fmac_f32 v81, 0x3ee1c552, v69 :: v_dual_add_f32 v68, v80, v68
	s_delay_alu instid0(VALU_DEP_4) | instskip(SKIP_2) | instid1(VALU_DEP_4)
	v_mul_f32_e32 v61, 0x3d64c772, v61
	v_dual_add_f32 v82, v102, v93 :: v_dual_sub_f32 v71, v64, v60
	v_add_f32_e32 v75, v60, v64
	v_fmamk_f32 v80, v80, 0xbf955555, v68
	v_dual_sub_f32 v60, v60, v58 :: v_dual_add_f32 v53, v65, v53
	s_delay_alu instid0(VALU_DEP_4) | instskip(NEXT) | instid1(VALU_DEP_3)
	v_dual_mul_f32 v71, 0xbf08b237, v71 :: v_dual_sub_f32 v64, v58, v64
	v_add_f32_e32 v70, v70, v80
	v_add_f32_e32 v0, v0, v80
	;; [unrolled: 1-line block ×3, first 2 shown]
	v_dual_add_f32 v58, v58, v75 :: v_dual_fmamk_f32 v65, v65, 0xbf955555, v53
	s_delay_alu instid0(VALU_DEP_4) | instskip(NEXT) | instid1(VALU_DEP_3)
	v_dual_add_f32 v93, v79, v70 :: v_dual_sub_f32 v70, v70, v79
	v_sub_f32_e32 v91, v80, v81
	v_fmac_f32_e32 v84, 0x3ee1c552, v69
	v_mul_f32_e32 v75, 0x3f4a47b2, v59
	v_fmamk_f32 v59, v59, 0x3f4a47b2, v61
	v_mul_f32_e32 v76, 0x3f5ff5aa, v60
	v_fma_f32 v61, 0x3f3bfb3b, v72, -v61
	v_fma_f32 v60, 0x3f5ff5aa, v60, -v71
	;; [unrolled: 1-line block ×3, first 2 shown]
	v_add_f32_e32 v59, v59, v65
	v_fmamk_f32 v75, v64, 0x3eae86e6, v71
	v_fma_f32 v64, 0xbeae86e6, v64, -v76
	v_add_f32_e32 v61, v61, v65
	v_dual_add_f32 v65, v72, v65 :: v_dual_fmac_f32 v60, 0x3ee1c552, v58
	s_delay_alu instid0(VALU_DEP_3) | instskip(SKIP_2) | instid1(VALU_DEP_4)
	v_dual_sub_f32 v83, v0, v84 :: v_dual_fmac_f32 v64, 0x3ee1c552, v58
	v_fmac_f32_e32 v75, 0x3ee1c552, v58
	v_dual_add_f32 v69, v96, v97 :: v_dual_add_f32 v58, v81, v80
	v_dual_add_f32 v77, v60, v61 :: v_dual_sub_f32 v60, v61, v60
	s_delay_alu instid0(VALU_DEP_4) | instskip(NEXT) | instid1(VALU_DEP_4)
	v_sub_f32_e32 v76, v65, v64
	v_dual_add_f32 v71, v84, v0 :: v_dual_sub_f32 v72, v59, v75
	v_dual_add_f32 v0, v63, v3 :: v_dual_add_f32 v3, v57, v49
	v_dual_add_f32 v49, v55, v51 :: v_dual_sub_f32 v50, v50, v54
	v_sub_f32_e32 v48, v48, v56
	s_waitcnt lgkmcnt(0)
	s_delay_alu instid0(VALU_DEP_3) | instskip(NEXT) | instid1(VALU_DEP_3)
	v_dual_add_f32 v51, v0, v3 :: v_dual_sub_f32 v54, v3, v0
	v_sub_f32_e32 v3, v49, v3
	s_delay_alu instid0(VALU_DEP_3) | instskip(SKIP_1) | instid1(VALU_DEP_4)
	v_add_f32_e32 v55, v48, v50
	v_sub_f32_e32 v0, v0, v49
	v_add_f32_e32 v49, v51, v49
	v_sub_f32_e32 v51, v50, v48
	v_sub_f32_e32 v50, v2, v50
	;; [unrolled: 1-line block ×3, first 2 shown]
	v_dual_add_f32 v2, v2, v55 :: v_dual_mul_f32 v55, 0x3f4a47b2, v0
	v_add_f32_e32 v1, v49, v1
	v_mul_f32_e32 v51, 0xbf08b237, v51
	s_barrier
	buffer_gl0_inv
                                        ; implicit-def: $vgpr62
                                        ; implicit-def: $vgpr137
	v_fmamk_f32 v49, v49, 0xbf955555, v1
	v_mul_f32_e32 v3, 0x3d64c772, v3
	s_delay_alu instid0(VALU_DEP_1) | instskip(NEXT) | instid1(VALU_DEP_1)
	v_fmamk_f32 v0, v0, 0x3f4a47b2, v3
	v_add_f32_e32 v0, v0, v49
	v_fma_f32 v3, 0x3f3bfb3b, v54, -v3
	v_mul_f32_e32 v56, 0x3f5ff5aa, v48
	v_fma_f32 v54, 0xbf3bfb3b, v54, -v55
	v_fma_f32 v48, 0x3f5ff5aa, v48, -v51
	s_delay_alu instid0(VALU_DEP_4) | instskip(NEXT) | instid1(VALU_DEP_3)
	v_add_f32_e32 v3, v3, v49
	v_add_f32_e32 v49, v54, v49
	v_fmamk_f32 v55, v50, 0x3eae86e6, v51
	v_fma_f32 v50, 0xbeae86e6, v50, -v56
	v_dual_fmac_f32 v48, 0x3ee1c552, v2 :: v_dual_add_f32 v51, v75, v59
	s_delay_alu instid0(VALU_DEP_2) | instskip(NEXT) | instid1(VALU_DEP_1)
	v_fmac_f32_e32 v50, 0x3ee1c552, v2
	v_sub_f32_e32 v56, v49, v50
	v_dual_fmac_f32 v55, 0x3ee1c552, v2 :: v_dual_add_f32 v2, v64, v65
	s_delay_alu instid0(VALU_DEP_4) | instskip(SKIP_1) | instid1(VALU_DEP_3)
	v_add_f32_e32 v57, v48, v3
	v_dual_sub_f32 v3, v3, v48 :: v_dual_add_f32 v48, v50, v49
	v_sub_f32_e32 v54, v0, v55
	v_add_f32_e32 v0, v55, v0
	ds_store_2addr_b32 v52, v105, v106 offset1:1
	ds_store_2addr_b32 v52, v113, v114 offset0:2 offset1:3
	ds_store_2addr_b32 v52, v107, v92 offset0:4 offset1:5
	ds_store_b32 v52, v100 offset:24
	ds_store_2addr_b32 v129, v89, v101 offset1:1
	ds_store_2addr_b32 v129, v103, v108 offset0:2 offset1:3
	ds_store_2addr_b32 v129, v90, v69 offset0:4 offset1:5
	ds_store_b32 v129, v82 offset:24
	;; [unrolled: 4-line block ×4, first 2 shown]
	ds_store_b32 v127, v1
	ds_store_2addr_b32 v127, v54, v56 offset0:1 offset1:2
	ds_store_2addr_b32 v127, v57, v3 offset0:3 offset1:4
	;; [unrolled: 1-line block ×3, first 2 shown]
	s_waitcnt lgkmcnt(0)
	s_barrier
	buffer_gl0_inv
	ds_load_2addr_b32 v[2:3], v120 offset0:17 offset1:35
	ds_load_2addr_b32 v[99:100], v120 offset0:52 offset1:70
	;; [unrolled: 1-line block ×16, first 2 shown]
	ds_load_b32 v102, v104
	ds_load_b32 v138, v120 offset:2308
                                        ; implicit-def: $vgpr52
                                        ; implicit-def: $vgpr50
                                        ; implicit-def: $vgpr60
                                        ; implicit-def: $vgpr55
                                        ; implicit-def: $vgpr57
                                        ; implicit-def: $vgpr65
	s_and_saveexec_b32 s1, s0
	s_cbranch_execz .LBB0_14
; %bb.13:
	v_add_nc_u32_e32 v54, 0x200, v122
	v_add_nc_u32_e32 v55, 0x400, v122
	;; [unrolled: 1-line block ×3, first 2 shown]
	ds_load_2addr_b32 v[0:1], v122 offset0:34 offset1:69
	ds_load_2addr_b32 v[52:53], v122 offset0:104 offset1:139
	ds_load_2addr_b32 v[50:51], v122 offset0:174 offset1:209
	ds_load_2addr_b32 v[62:63], v54 offset0:116 offset1:151
	ds_load_2addr_b32 v[60:61], v55 offset0:58 offset1:93
	ds_load_2addr_b32 v[64:65], v55 offset0:128 offset1:163
	ds_load_2addr_b32 v[56:57], v55 offset0:198 offset1:233
	ds_load_2addr_b32 v[54:55], v72 offset0:12 offset1:47
	ds_load_b32 v137, v122 offset:2376
.LBB0_14:
	s_or_b32 exec_lo, exec_lo, s1
	v_and_b32_e32 v72, 0xff, v26
	v_add_nc_u32_e32 v101, 17, v26
	s_delay_alu instid0(VALU_DEP_2) | instskip(NEXT) | instid1(VALU_DEP_2)
	v_mul_lo_u16 v72, v72, 37
	v_and_b32_e32 v105, 0xff, v101
	s_delay_alu instid0(VALU_DEP_2) | instskip(NEXT) | instid1(VALU_DEP_2)
	v_lshrrev_b16 v72, 8, v72
	v_mul_lo_u16 v105, v105, 37
	s_delay_alu instid0(VALU_DEP_2) | instskip(NEXT) | instid1(VALU_DEP_2)
	v_sub_nc_u16 v103, v26, v72
	v_lshrrev_b16 v105, 8, v105
	s_delay_alu instid0(VALU_DEP_2) | instskip(NEXT) | instid1(VALU_DEP_1)
	v_lshrrev_b16 v103, 1, v103
	v_and_b32_e32 v103, 0x7f, v103
	s_delay_alu instid0(VALU_DEP_1) | instskip(NEXT) | instid1(VALU_DEP_4)
	v_add_nc_u16 v72, v103, v72
	v_sub_nc_u16 v103, v101, v105
	s_delay_alu instid0(VALU_DEP_2) | instskip(NEXT) | instid1(VALU_DEP_2)
	v_lshrrev_b16 v132, 2, v72
	v_lshrrev_b16 v72, 1, v103
	s_delay_alu instid0(VALU_DEP_2) | instskip(NEXT) | instid1(VALU_DEP_1)
	v_mul_lo_u16 v103, v132, 7
	v_sub_nc_u16 v103, v26, v103
	s_delay_alu instid0(VALU_DEP_1) | instskip(NEXT) | instid1(VALU_DEP_1)
	v_and_b32_e32 v133, 0xff, v103
	v_lshlrev_b32_e32 v103, 7, v133
	s_clause 0x1
	global_load_b128 v[106:109], v103, s[4:5]
	global_load_b128 v[122:125], v103, s[4:5] offset:16
	v_and_b32_e32 v72, 0x7f, v72
	s_delay_alu instid0(VALU_DEP_1) | instskip(NEXT) | instid1(VALU_DEP_1)
	v_add_nc_u16 v72, v72, v105
	v_lshrrev_b16 v129, 2, v72
	s_delay_alu instid0(VALU_DEP_1) | instskip(SKIP_1) | instid1(VALU_DEP_1)
	v_mul_lo_u16 v72, v129, 7
	v_and_b32_e32 v129, 0xffff, v129
	v_mad_u32_u24 v129, 0x1dc, v129, 0
	s_waitcnt vmcnt(1)
	v_mul_f32_e32 v118, v7, v107
	v_sub_nc_u16 v72, v101, v72
	v_mul_f32_e32 v115, v88, v109
	s_waitcnt vmcnt(0) lgkmcnt(14)
	s_delay_alu instid0(VALU_DEP_3) | instskip(NEXT) | instid1(VALU_DEP_3)
	v_dual_mul_f32 v113, v96, v125 :: v_dual_fmac_f32 v118, v3, v106
	v_and_b32_e32 v130, 0xff, v72
	v_add_nc_u32_e32 v72, 34, v26
	s_delay_alu instid0(VALU_DEP_2)
	v_lshlrev_b32_e32 v105, 7, v130
	s_clause 0xa
	global_load_b128 v[139:142], v105, s[4:5]
	global_load_b128 v[143:146], v105, s[4:5] offset:16
	global_load_b128 v[147:150], v103, s[4:5] offset:32
	;; [unrolled: 1-line block ×10, first 2 shown]
	v_mul_f32_e32 v103, v3, v107
	v_mul_f32_e32 v107, v100, v109
	v_dual_mul_f32 v109, v98, v123 :: v_dual_and_b32 v110, 0xff, v72
	v_fmac_f32_e32 v115, v100, v108
	s_delay_alu instid0(VALU_DEP_4) | instskip(NEXT) | instid1(VALU_DEP_4)
	v_fma_f32 v119, v7, v106, -v103
	v_fma_f32 v117, v88, v108, -v107
	;; [unrolled: 1-line block ×3, first 2 shown]
	v_mul_lo_u16 v110, v110, 37
	v_lshlrev_b32_e32 v130, 2, v130
	s_delay_alu instid0(VALU_DEP_2) | instskip(NEXT) | instid1(VALU_DEP_1)
	v_lshrrev_b16 v110, 8, v110
	v_sub_nc_u16 v111, v72, v110
	s_delay_alu instid0(VALU_DEP_1) | instskip(NEXT) | instid1(VALU_DEP_1)
	v_lshrrev_b16 v111, 1, v111
	v_and_b32_e32 v111, 0x7f, v111
	s_delay_alu instid0(VALU_DEP_1) | instskip(SKIP_1) | instid1(VALU_DEP_2)
	v_add_nc_u16 v110, v111, v110
	v_fma_f32 v111, v86, v122, -v109
	v_lshrrev_b16 v110, 2, v110
	s_delay_alu instid0(VALU_DEP_1) | instskip(NEXT) | instid1(VALU_DEP_1)
	v_mul_lo_u16 v110, v110, 7
	v_sub_nc_u16 v110, v72, v110
	s_delay_alu instid0(VALU_DEP_1) | instskip(NEXT) | instid1(VALU_DEP_1)
	v_dual_mul_f32 v110, v86, v123 :: v_dual_and_b32 v131, 0xff, v110
	v_dual_fmac_f32 v110, v98, v122 :: v_dual_lshlrev_b32 v133, 2, v133
	s_waitcnt vmcnt(10)
	v_mul_f32_e32 v98, v85, v142
	v_mul_f32_e32 v100, v87, v140
	;; [unrolled: 1-line block ×4, first 2 shown]
	s_waitcnt vmcnt(8)
	v_dual_mul_f32 v107, v67, v148 :: v_dual_fmac_f32 v98, v97, v141
	v_lshlrev_b32_e32 v112, 7, v131
	v_fmac_f32_e32 v100, v99, v139
	s_clause 0x2
	global_load_b128 v[183:186], v105, s[4:5] offset:80
	global_load_b128 v[187:190], v105, s[4:5] offset:96
	;; [unrolled: 1-line block ×3, first 2 shown]
	v_mul_f32_e32 v105, v74, v125
	s_clause 0x1
	global_load_b128 v[195:198], v112, s[4:5]
	global_load_b128 v[199:202], v112, s[4:5] offset:16
	v_fma_f32 v103, v87, v139, -v3
	v_mul_f32_e32 v3, v95, v144
	v_fmac_f32_e32 v105, v96, v124
	v_mul_f32_e32 v96, v73, v144
	v_fma_f32 v99, v85, v141, -v7
	s_waitcnt vmcnt(8) lgkmcnt(13)
	v_dual_mul_f32 v7, v94, v148 :: v_dual_mul_f32 v114, v35, v170
	v_fma_f32 v97, v73, v143, -v3
	s_waitcnt lgkmcnt(12)
	v_dual_mul_f32 v3, v92, v150 :: v_dual_fmac_f32 v96, v95, v143
	v_mul_f32_e32 v95, v47, v150
	s_clause 0x1
	global_load_b128 v[139:142], v112, s[4:5] offset:32
	global_load_b128 v[203:206], v112, s[4:5] offset:48
	v_mul_f32_e32 v73, v93, v146
	v_fma_f32 v109, v47, v149, -v3
	s_waitcnt lgkmcnt(6)
	v_dual_mul_f32 v3, v91, v152 :: v_dual_fmac_f32 v114, v76, v169
	v_mul_f32_e32 v47, v44, v154
	v_mul_f32_e32 v85, v66, v146
	v_fma_f32 v108, v67, v147, -v7
	v_mul_f32_e32 v7, v89, v154
	v_fma_f32 v88, v46, v151, -v3
	v_fmac_f32_e32 v47, v89, v153
	v_mul_f32_e32 v3, v90, v156
	s_waitcnt vmcnt(9)
	v_dual_mul_f32 v89, v43, v158 :: v_dual_mul_f32 v122, v33, v172
	s_waitcnt vmcnt(8)
	v_dual_mul_f32 v87, v46, v152 :: v_dual_mul_f32 v126, v9, v178
	v_fmac_f32_e32 v107, v94, v147
	v_fma_f32 v86, v66, v145, -v73
	v_fmac_f32_e32 v95, v92, v149
	s_waitcnt lgkmcnt(5)
	v_dual_fmac_f32 v89, v84, v157 :: v_dual_fmac_f32 v122, v71, v171
	s_waitcnt lgkmcnt(2)
	v_dual_fmac_f32 v87, v91, v151 :: v_dual_fmac_f32 v126, v49, v177
	v_mul_f32_e32 v91, v45, v156
	v_fma_f32 v46, v44, v153, -v7
	v_mul_f32_e32 v7, v82, v164
	v_mul_f32_e32 v66, v78, v168
	;; [unrolled: 1-line block ×3, first 2 shown]
	s_delay_alu instid0(VALU_DEP_2) | instskip(NEXT) | instid1(VALU_DEP_2)
	v_fma_f32 v113, v37, v167, -v66
	v_fmac_f32_e32 v124, v69, v173
	s_waitcnt vmcnt(6)
	v_mul_f32_e32 v66, v75, v184
	s_waitcnt vmcnt(3)
	v_mul_f32_e32 v156, v52, v198
	v_fma_f32 v92, v45, v155, -v3
	v_dual_mul_f32 v3, v84, v158 :: v_dual_mul_f32 v84, v41, v164
	v_fmac_f32_e32 v85, v93, v145
	s_clause 0x3
	global_load_b128 v[143:146], v112, s[4:5] offset:64
	global_load_b128 v[207:210], v112, s[4:5] offset:80
	;; [unrolled: 1-line block ×4, first 2 shown]
	v_mul_f32_e32 v93, v39, v166
	v_dual_mul_f32 v45, v80, v166 :: v_dual_fmac_f32 v84, v82, v163
	s_waitcnt lgkmcnt(0)
	v_mul_f32_e32 v82, v138, v194
	s_waitcnt vmcnt(6)
	v_dual_fmac_f32 v91, v90, v155 :: v_dual_mul_f32 v74, v15, v200
	v_dual_fmac_f32 v93, v80, v165 :: v_dual_mul_f32 v80, v5, v196
	v_fma_f32 v90, v43, v157, -v3
	v_dual_mul_f32 v3, v83, v160 :: v_dual_mul_f32 v158, v50, v202
	v_mul_f32_e32 v43, v42, v160
	v_mul_f32_e32 v112, v37, v168
	;; [unrolled: 1-line block ×3, first 2 shown]
	s_delay_alu instid0(VALU_DEP_4) | instskip(SKIP_4) | instid1(VALU_DEP_3)
	v_fma_f32 v44, v42, v159, -v3
	v_mul_f32_e32 v3, v81, v162
	v_dual_mul_f32 v42, v40, v162 :: v_dual_fmac_f32 v43, v83, v159
	s_waitcnt vmcnt(4)
	v_dual_mul_f32 v73, v79, v180 :: v_dual_mul_f32 v160, v60, v206
	v_fma_f32 v40, v40, v161, -v3
	v_dual_mul_f32 v3, v76, v170 :: v_dual_fmac_f32 v80, v1, v195
	v_fma_f32 v83, v41, v163, -v7
	v_mul_f32_e32 v41, v59, v176
	v_dual_mul_f32 v127, v29, v176 :: v_dual_fmac_f32 v112, v78, v167
	s_delay_alu instid0(VALU_DEP_4)
	v_fma_f32 v116, v35, v169, -v3
	v_dual_mul_f32 v35, v38, v180 :: v_dual_fmac_f32 v74, v53, v199
	v_fma_f32 v123, v33, v171, -v67
	v_dual_mul_f32 v78, v14, v198 :: v_dual_mul_f32 v159, v51, v140
	v_dual_mul_f32 v71, v13, v140 :: v_dual_mul_f32 v140, v62, v142
	;; [unrolled: 1-line block ×3, first 2 shown]
	v_fma_f32 v94, v39, v165, -v45
	s_delay_alu instid0(VALU_DEP_4)
	v_dual_mul_f32 v45, v49, v178 :: v_dual_fmac_f32 v78, v52, v197
	v_dual_mul_f32 v76, v58, v190 :: v_dual_mul_f32 v157, v53, v200
	v_dual_fmac_f32 v42, v81, v161 :: v_dual_mul_f32 v37, v36, v182
	v_mul_f32_e32 v155, v1, v196
	v_dual_mul_f32 v81, v48, v192 :: v_dual_add_f32 v52, v106, v123
	v_fma_f32 v1, v18, v205, -v160
	s_waitcnt vmcnt(0)
	s_barrier
	buffer_gl0_inv
	v_dual_mul_f32 v161, v61, v144 :: v_dual_mul_f32 v162, v56, v210
	v_fma_f32 v128, v29, v175, -v41
	v_mul_f32_e32 v41, v30, v188
	v_fma_f32 v29, v38, v179, -v73
	v_dual_mul_f32 v38, v8, v192 :: v_dual_mul_f32 v7, v69, v174
	v_mul_f32_e32 v73, v12, v202
	s_delay_alu instid0(VALU_DEP_4) | instskip(NEXT) | instid1(VALU_DEP_3)
	v_fmac_f32_e32 v41, v68, v187
	v_dual_mul_f32 v163, v57, v148 :: v_dual_fmac_f32 v38, v48, v191
	s_delay_alu instid0(VALU_DEP_4)
	v_fma_f32 v125, v31, v173, -v7
	v_mul_f32_e32 v69, v68, v188
	v_dual_mul_f32 v68, v16, v210 :: v_dual_mul_f32 v33, v34, v184
	v_fmac_f32_e32 v127, v59, v175
	v_fma_f32 v59, v9, v177, -v45
	v_fma_f32 v34, v34, v183, -v66
	v_mul_f32_e32 v66, v22, v146
	v_mul_f32_e32 v3, v77, v182
	v_dual_mul_f32 v7, v70, v186 :: v_dual_fmac_f32 v68, v56, v209
	s_delay_alu instid0(VALU_DEP_3) | instskip(NEXT) | instid1(VALU_DEP_3)
	v_dual_fmac_f32 v33, v75, v183 :: v_dual_fmac_f32 v66, v64, v145
	v_fma_f32 v31, v36, v181, -v3
	v_fma_f32 v36, v28, v189, -v76
	;; [unrolled: 1-line block ×5, first 2 shown]
	v_dual_add_f32 v20, v119, v59 :: v_dual_mul_f32 v75, v10, v150
	v_mul_f32_e32 v39, v32, v186
	v_mul_f32_e32 v45, v28, v190
	v_fma_f32 v32, v32, v185, -v7
	v_mul_f32_e32 v28, v17, v148
	v_mul_f32_e32 v148, v54, v150
	v_fma_f32 v48, v135, v193, -v82
	v_fma_f32 v82, v5, v195, -v155
	;; [unrolled: 1-line block ×3, first 2 shown]
	v_dual_fmac_f32 v75, v54, v149 :: v_dual_sub_f32 v54, v107, v114
	v_dual_mul_f32 v7, v19, v144 :: v_dual_mul_f32 v144, v64, v146
	v_dual_mul_f32 v146, v65, v208 :: v_dual_sub_f32 v19, v118, v126
	v_fmac_f32_e32 v39, v70, v185
	v_fmac_f32_e32 v45, v58, v189
	v_fma_f32 v70, v12, v201, -v158
	v_fmac_f32_e32 v73, v50, v201
	v_fma_f32 v12, v22, v145, -v144
	v_sub_f32_e32 v22, v115, v127
	v_add_f32_e32 v50, v111, v125
	v_fma_f32 v30, v30, v187, -v69
	v_dual_mul_f32 v69, v23, v208 :: v_dual_mul_f32 v56, 0xbeb8f4ab, v19
	v_fma_f32 v58, v8, v191, -v81
	v_fma_f32 v81, v14, v197, -v156
	;; [unrolled: 1-line block ×3, first 2 shown]
	v_sub_f32_e32 v23, v110, v124
	v_mul_f32_e32 v150, v55, v152
	v_fma_f32 v8, v21, v203, -v142
	v_fmac_f32_e32 v28, v57, v147
	v_dual_fmac_f32 v37, v77, v181 :: v_dual_mul_f32 v64, 0xbf06c442, v19
	v_mul_f32_e32 v140, 0x3f65296c, v22
	v_mul_f32_e32 v144, 0x3f763a35, v23
	v_fmac_f32_e32 v71, v51, v139
	v_sub_f32_e32 v51, v105, v122
	v_mul_f32_e32 v9, v21, v204
	v_mul_f32_e32 v3, v18, v206
	v_add_f32_e32 v21, v117, v128
	v_dual_mul_f32 v77, v11, v152 :: v_dual_mul_f32 v152, v137, v154
	v_mul_f32_e32 v49, v135, v194
	v_fma_f32 v11, v11, v151, -v150
	v_mul_f32_e32 v150, 0x3f763a35, v51
	v_fmac_f32_e32 v35, v79, v179
	v_fma_f32 v18, v136, v153, -v152
	v_dual_mul_f32 v152, 0xbf65296c, v51 :: v_dual_fmac_f32 v3, v60, v205
	v_dual_mul_f32 v60, 0xbf65296c, v19 :: v_dual_mul_f32 v79, v136, v154
	v_fma_f32 v16, v16, v209, -v162
	v_dual_mul_f32 v142, 0xbf4c4adb, v23 :: v_dual_fmac_f32 v49, v138, v193
	v_mul_f32_e32 v138, 0x3f06c442, v22
	v_dual_mul_f32 v158, 0xbf65296c, v54 :: v_dual_fmac_f32 v7, v61, v143
	v_fma_f32 v162, 0x3ee437d1, v20, -v60
	v_fmac_f32_e32 v60, 0x3ee437d1, v20
	v_fma_f32 v166, 0xbf59a7d5, v20, -v64
	v_mul_f32_e32 v61, 0xbf7ee86f, v19
	v_fmac_f32_e32 v64, 0xbf59a7d5, v20
	v_fma_f32 v10, v10, v149, -v148
	v_fma_f32 v160, 0x3f6eb680, v20, -v56
	v_add_f32_e32 v166, v134, v166
	v_dual_fmac_f32 v56, 0x3f6eb680, v20 :: v_dual_fmac_f32 v79, v137, v153
	v_add_f32_e32 v162, v134, v162
	v_fma_f32 v171, 0xbf59a7d5, v21, -v138
	v_fmac_f32_e32 v138, 0xbf59a7d5, v21
	s_delay_alu instid0(VALU_DEP_4)
	v_add_f32_e32 v56, v134, v56
	v_fma_f32 v17, v17, v147, -v163
	v_fma_f32 v163, 0x3dbcf732, v20, -v61
	v_fmac_f32_e32 v61, 0x3dbcf732, v20
	v_fma_f32 v173, 0x3ee437d1, v21, -v140
	v_fmac_f32_e32 v140, 0x3ee437d1, v21
	v_add_f32_e32 v60, v134, v60
	v_mul_f32_e32 v148, 0xbf7ee86f, v51
	v_fmac_f32_e32 v9, v63, v203
	v_dual_mul_f32 v63, 0xbf4c4adb, v19 :: v_dual_add_f32 v64, v134, v64
	v_mul_f32_e32 v137, 0xbe3c28d5, v22
	v_mul_f32_e32 v136, 0xbf4c4adb, v22
	v_dual_mul_f32 v146, 0xbeb8f4ab, v23 :: v_dual_fmac_f32 v67, v62, v141
	v_mul_f32_e32 v62, 0xbf763a35, v19
	v_fma_f32 v183, 0xbe8c1d8e, v52, -v150
	v_dual_fmac_f32 v150, 0xbe8c1d8e, v52 :: v_dual_add_f32 v61, v134, v61
	v_add_f32_e32 v64, v140, v64
	v_fma_f32 v170, 0xbf7ba420, v21, -v137
	v_fmac_f32_e32 v137, 0xbf7ba420, v21
	v_mul_f32_e32 v154, 0x3f4c4adb, v51
	v_fma_f32 v164, 0xbe8c1d8e, v20, -v62
	v_mul_f32_e32 v57, 0xbf2c7751, v19
	v_fma_f32 v169, 0xbf1a4643, v21, -v136
	v_mul_f32_e32 v19, 0xbe3c28d5, v19
	v_dual_fmac_f32 v136, 0xbf1a4643, v21 :: v_dual_fmac_f32 v69, v65, v207
	v_mul_f32_e32 v65, 0xbf2c7751, v22
	v_fma_f32 v177, 0xbe8c1d8e, v50, -v144
	v_fmac_f32_e32 v144, 0xbe8c1d8e, v50
	s_delay_alu instid0(VALU_DEP_4)
	v_dual_add_f32 v60, v136, v60 :: v_dual_add_f32 v61, v137, v61
	v_fmac_f32_e32 v62, 0xbe8c1d8e, v20
	v_fma_f32 v165, 0xbf1a4643, v20, -v63
	v_fma_f32 v185, 0x3ee437d1, v52, -v152
	v_fmac_f32_e32 v152, 0x3ee437d1, v52
	v_add_f32_e32 v164, v134, v164
	v_fma_f32 v161, 0x3f3d2fb0, v20, -v57
	v_dual_fmac_f32 v57, 0x3f3d2fb0, v20 :: v_dual_add_f32 v162, v169, v162
	v_fma_f32 v167, 0xbf7ba420, v20, -v19
	v_fmac_f32_e32 v19, 0xbf7ba420, v20
	v_add_f32_e32 v61, v144, v61
	v_fmac_f32_e32 v63, 0xbf1a4643, v20
	v_fma_f32 v20, 0x3f3d2fb0, v21, -v65
	v_fmac_f32_e32 v65, 0x3f3d2fb0, v21
	v_add_f32_e32 v53, v134, v119
	v_dual_fmac_f32 v77, v55, v151 :: v_dual_add_f32 v160, v134, v160
	v_dual_add_f32 v55, v108, v116 :: v_dual_add_f32 v62, v134, v62
	v_mul_f32_e32 v156, 0x3f06c442, v54
	v_add_f32_e32 v56, v65, v56
	v_add_f32_e32 v53, v53, v117
	;; [unrolled: 1-line block ×3, first 2 shown]
	v_mul_f32_e32 v139, 0x3f763a35, v22
	v_fma_f32 v65, 0xbf59a7d5, v55, -v156
	v_fmac_f32_e32 v156, 0xbf59a7d5, v55
	v_add_f32_e32 v53, v53, v111
	v_add_f32_e32 v165, v134, v165
	v_fma_f32 v172, 0xbe8c1d8e, v21, -v139
	v_mul_f32_e32 v135, 0xbf7ee86f, v22
	v_mul_f32_e32 v22, 0x3eb8f4ab, v22
	v_add_f32_e32 v53, v53, v106
	v_add_f32_e32 v161, v134, v161
	;; [unrolled: 1-line block ×4, first 2 shown]
	v_fma_f32 v174, 0x3f6eb680, v21, -v22
	v_dual_fmac_f32 v22, 0x3f6eb680, v21 :: v_dual_add_f32 v63, v134, v63
	v_dual_add_f32 v19, v134, v19 :: v_dual_mul_f32 v134, 0xbeb8f4ab, v54
	v_add_f32_e32 v53, v53, v108
	v_mul_f32_e32 v143, 0x3e3c28d5, v23
	v_dual_mul_f32 v141, 0xbf65296c, v23 :: v_dual_add_f32 v62, v138, v62
	s_delay_alu instid0(VALU_DEP_3) | instskip(NEXT) | instid1(VALU_DEP_3)
	v_dual_add_f32 v19, v22, v19 :: v_dual_add_f32 v22, v53, v109
	v_fma_f32 v176, 0xbf7ba420, v50, -v143
	v_fmac_f32_e32 v143, 0xbf7ba420, v50
	v_dual_mul_f32 v149, 0xbe3c28d5, v51 :: v_dual_add_f32 v138, v172, v165
	v_fma_f32 v168, 0x3dbcf732, v21, -v135
	v_fma_f32 v175, 0xbf1a4643, v50, -v142
	s_delay_alu instid0(VALU_DEP_4) | instskip(NEXT) | instid1(VALU_DEP_4)
	v_add_f32_e32 v60, v143, v60
	v_fma_f32 v182, 0xbf7ba420, v52, -v149
	v_fmac_f32_e32 v149, 0xbf7ba420, v52
	v_fmac_f32_e32 v135, 0x3dbcf732, v21
	;; [unrolled: 1-line block ×3, first 2 shown]
	v_add_f32_e32 v20, v20, v160
	v_dual_add_f32 v140, v174, v167 :: v_dual_fmac_f32 v139, 0xbe8c1d8e, v21
	v_fma_f32 v21, 0x3ee437d1, v50, -v141
	v_mul_f32_e32 v145, 0x3f2c7751, v23
	v_add_f32_e32 v57, v135, v57
	v_mul_f32_e32 v147, 0xbf7ee86f, v23
	v_dual_mul_f32 v23, 0xbf06c442, v23 :: v_dual_add_f32 v22, v22, v92
	v_mul_f32_e32 v151, 0x3eb8f4ab, v51
	v_fmac_f32_e32 v141, 0x3ee437d1, v50
	v_fma_f32 v135, 0x3ee437d1, v55, -v158
	v_fmac_f32_e32 v158, 0x3ee437d1, v55
	v_add_f32_e32 v22, v22, v90
	v_dual_mul_f32 v155, 0xbf763a35, v54 :: v_dual_add_f32 v20, v21, v20
	v_dual_add_f32 v21, v141, v56 :: v_dual_add_f32 v56, v142, v57
	s_delay_alu instid0(VALU_DEP_3)
	v_add_f32_e32 v22, v22, v83
	v_fma_f32 v180, 0x3dbcf732, v50, -v147
	v_fma_f32 v178, 0x3f3d2fb0, v50, -v145
	;; [unrolled: 1-line block ×3, first 2 shown]
	v_fmac_f32_e32 v146, 0x3f6eb680, v50
	v_add_f32_e32 v22, v22, v94
	v_fma_f32 v181, 0xbf59a7d5, v50, -v23
	v_fma_f32 v187, 0xbf1a4643, v52, -v154
	v_fmac_f32_e32 v154, 0xbf1a4643, v52
	s_delay_alu instid0(VALU_DEP_4) | instskip(SKIP_2) | instid1(VALU_DEP_3)
	v_dual_fmac_f32 v147, 0x3dbcf732, v50 :: v_dual_add_f32 v22, v22, v113
	v_mul_f32_e32 v157, 0x3f2c7751, v54
	v_fma_f32 v160, 0xbe8c1d8e, v55, -v155
	v_dual_add_f32 v163, v170, v163 :: v_dual_add_f32 v64, v147, v64
	s_delay_alu instid0(VALU_DEP_4) | instskip(SKIP_2) | instid1(VALU_DEP_4)
	v_dual_add_f32 v22, v22, v116 :: v_dual_add_f32 v63, v139, v63
	v_add_f32_e32 v139, v173, v166
	v_fma_f32 v184, 0x3f6eb680, v52, -v151
	v_add_f32_e32 v64, v154, v64
	s_delay_alu instid0(VALU_DEP_4) | instskip(NEXT) | instid1(VALU_DEP_4)
	v_dual_add_f32 v22, v22, v123 :: v_dual_fmac_f32 v23, 0xbf59a7d5, v50
	v_add_f32_e32 v139, v180, v139
	v_fmac_f32_e32 v145, 0x3f3d2fb0, v50
	v_fma_f32 v50, 0x3dbcf732, v52, -v148
	v_mul_f32_e32 v153, 0xbf06c442, v51
	v_dual_mul_f32 v51, 0x3f2c7751, v51 :: v_dual_add_f32 v138, v179, v138
	v_add_f32_e32 v137, v171, v164
	s_delay_alu instid0(VALU_DEP_4) | instskip(SKIP_3) | instid1(VALU_DEP_4)
	v_dual_add_f32 v20, v50, v20 :: v_dual_add_f32 v57, v176, v162
	v_add_f32_e32 v141, v177, v163
	v_dual_add_f32 v50, v149, v56 :: v_dual_mul_f32 v159, 0xbe3c28d5, v54
	v_add_f32_e32 v140, v181, v140
	v_add_f32_e32 v20, v160, v20
	;; [unrolled: 1-line block ×3, first 2 shown]
	v_fma_f32 v188, 0x3f3d2fb0, v52, -v51
	v_fmac_f32_e32 v51, 0x3f3d2fb0, v52
	v_fma_f32 v168, 0x3f3d2fb0, v55, -v157
	v_add_f32_e32 v137, v178, v137
	v_dual_add_f32 v53, v175, v161 :: v_dual_add_f32 v56, v150, v60
	v_dual_add_f32 v22, v22, v125 :: v_dual_add_f32 v19, v23, v19
	v_dual_add_f32 v50, v156, v50 :: v_dual_fmac_f32 v157, 0x3f3d2fb0, v55
	s_delay_alu instid0(VALU_DEP_3)
	v_add_f32_e32 v23, v182, v53
	v_add_f32_e32 v53, v183, v57
	;; [unrolled: 1-line block ×3, first 2 shown]
	v_fmac_f32_e32 v151, 0x3f6eb680, v52
	v_fmac_f32_e32 v148, 0x3dbcf732, v52
	v_fma_f32 v169, 0xbf7ba420, v55, -v159
	v_add_f32_e32 v62, v145, v62
	v_fma_f32 v186, 0xbf59a7d5, v52, -v153
	v_add_f32_e32 v63, v146, v63
	v_dual_add_f32 v19, v51, v19 :: v_dual_add_f32 v22, v22, v128
	v_add_f32_e32 v51, v168, v53
	v_dual_add_f32 v53, v157, v56 :: v_dual_add_f32 v56, v135, v57
	v_add_f32_e32 v60, v151, v61
	v_add_f32_e32 v61, v185, v137
	v_fmac_f32_e32 v153, 0xbf59a7d5, v52
	v_dual_mul_f32 v52, 0x3f7ee86f, v54 :: v_dual_add_f32 v57, v22, v59
	s_delay_alu instid0(VALU_DEP_3) | instskip(NEXT) | instid1(VALU_DEP_3)
	v_dual_fmac_f32 v159, 0xbf7ba420, v55 :: v_dual_add_f32 v22, v169, v61
	v_add_f32_e32 v63, v153, v63
	s_delay_alu instid0(VALU_DEP_3)
	v_fma_f32 v136, 0x3dbcf732, v55, -v52
	v_fmac_f32_e32 v52, 0x3dbcf732, v55
	v_add_f32_e32 v62, v152, v62
	v_add_f32_e32 v137, v186, v138
	v_add_f32_e32 v23, v65, v23
	v_fma_f32 v65, 0x3f6eb680, v55, -v134
	v_dual_add_f32 v52, v52, v63 :: v_dual_sub_f32 v63, v95, v112
	v_fmac_f32_e32 v134, 0x3f6eb680, v55
	v_add_f32_e32 v138, v187, v139
	v_dual_add_f32 v61, v159, v62 :: v_dual_add_f32 v62, v136, v137
	v_add_f32_e32 v136, v109, v113
	s_delay_alu instid0(VALU_DEP_4) | instskip(NEXT) | instid1(VALU_DEP_4)
	v_add_f32_e32 v64, v134, v64
	v_dual_mul_f32 v134, 0x3f763a35, v63 :: v_dual_add_f32 v65, v65, v138
	v_mul_f32_e32 v54, 0xbf4c4adb, v54
	v_dual_fmac_f32 v155, 0xbe8c1d8e, v55 :: v_dual_add_f32 v60, v158, v60
	s_delay_alu instid0(VALU_DEP_3)
	v_fma_f32 v138, 0xbe8c1d8e, v136, -v134
	v_fmac_f32_e32 v134, 0xbe8c1d8e, v136
	v_add_f32_e32 v139, v188, v140
	v_fma_f32 v135, 0xbf1a4643, v55, -v54
	v_mul_f32_e32 v137, 0xbf4c4adb, v63
	v_add_f32_e32 v23, v138, v23
	v_add_f32_e32 v50, v134, v50
	v_mul_f32_e32 v134, 0x3f7ee86f, v63
	v_fmac_f32_e32 v54, 0xbf1a4643, v55
	v_add_f32_e32 v55, v135, v139
	v_fma_f32 v135, 0xbf1a4643, v136, -v137
	v_fmac_f32_e32 v137, 0xbf1a4643, v136
	v_fma_f32 v138, 0x3dbcf732, v136, -v134
	v_add_f32_e32 v19, v54, v19
	v_mul_f32_e32 v54, 0xbeb8f4ab, v63
	v_add_f32_e32 v20, v135, v20
	v_fmac_f32_e32 v134, 0x3dbcf732, v136
	v_dual_add_f32 v22, v138, v22 :: v_dual_add_f32 v21, v148, v21
	s_delay_alu instid0(VALU_DEP_4) | instskip(NEXT) | instid1(VALU_DEP_3)
	v_fma_f32 v135, 0x3f6eb680, v136, -v54
	v_dual_fmac_f32 v54, 0x3f6eb680, v136 :: v_dual_add_f32 v61, v134, v61
	s_delay_alu instid0(VALU_DEP_3) | instskip(NEXT) | instid1(VALU_DEP_3)
	v_dual_mul_f32 v134, 0xbe3c28d5, v63 :: v_dual_add_f32 v21, v155, v21
	v_add_f32_e32 v51, v135, v51
	s_delay_alu instid0(VALU_DEP_3) | instskip(NEXT) | instid1(VALU_DEP_3)
	v_dual_add_f32 v53, v54, v53 :: v_dual_mul_f32 v54, 0xbf2c7751, v63
	v_dual_add_f32 v138, v92, v94 :: v_dual_add_f32 v21, v137, v21
	v_mul_f32_e32 v137, 0xbf06c442, v63
	v_dual_mul_f32 v63, 0x3f65296c, v63 :: v_dual_add_f32 v142, v99, v58
	s_delay_alu instid0(VALU_DEP_2) | instskip(SKIP_1) | instid1(VALU_DEP_2)
	v_fma_f32 v135, 0xbf59a7d5, v136, -v137
	v_fmac_f32_e32 v137, 0xbf59a7d5, v136
	v_add_f32_e32 v56, v135, v56
	v_fma_f32 v135, 0x3f3d2fb0, v136, -v54
	v_fmac_f32_e32 v54, 0x3f3d2fb0, v136
	s_delay_alu instid0(VALU_DEP_4) | instskip(SKIP_1) | instid1(VALU_DEP_4)
	v_add_f32_e32 v60, v137, v60
	v_fma_f32 v137, 0x3ee437d1, v136, -v63
	v_dual_fmac_f32 v63, 0x3ee437d1, v136 :: v_dual_add_f32 v62, v135, v62
	s_delay_alu instid0(VALU_DEP_4) | instskip(SKIP_2) | instid1(VALU_DEP_4)
	v_add_f32_e32 v52, v54, v52
	v_sub_f32_e32 v54, v91, v93
	v_fma_f32 v135, 0xbf7ba420, v136, -v134
	v_dual_fmac_f32 v134, 0xbf7ba420, v136 :: v_dual_add_f32 v19, v63, v19
	v_add_f32_e32 v55, v137, v55
	s_delay_alu instid0(VALU_DEP_4) | instskip(NEXT) | instid1(VALU_DEP_3)
	v_mul_f32_e32 v139, 0xbf06c442, v54
	v_dual_add_f32 v65, v135, v65 :: v_dual_add_f32 v64, v134, v64
	v_mul_f32_e32 v135, 0x3f65296c, v54
	v_mul_f32_e32 v63, 0xbf7ee86f, v54
	s_delay_alu instid0(VALU_DEP_4) | instskip(SKIP_2) | instid1(VALU_DEP_4)
	v_fma_f32 v134, 0xbf59a7d5, v138, -v139
	v_mul_f32_e32 v137, 0x3f4c4adb, v54
	v_fmac_f32_e32 v139, 0xbf59a7d5, v138
	v_fma_f32 v136, 0x3dbcf732, v138, -v63
	s_delay_alu instid0(VALU_DEP_4)
	v_add_f32_e32 v20, v134, v20
	v_fma_f32 v134, 0x3ee437d1, v138, -v135
	v_fmac_f32_e32 v135, 0x3ee437d1, v138
	v_fmac_f32_e32 v63, 0x3dbcf732, v138
	v_add_f32_e32 v51, v136, v51
	v_add_f32_e32 v21, v139, v21
	s_delay_alu instid0(VALU_DEP_4) | instskip(SKIP_4) | instid1(VALU_DEP_4)
	v_dual_add_f32 v23, v134, v23 :: v_dual_add_f32 v50, v135, v50
	v_fma_f32 v134, 0xbf1a4643, v138, -v137
	v_mul_f32_e32 v135, 0xbeb8f4ab, v54
	v_add_f32_e32 v53, v63, v53
	v_mul_f32_e32 v63, 0xbe3c28d5, v54
	v_dual_fmac_f32 v137, 0xbf1a4643, v138 :: v_dual_add_f32 v56, v134, v56
	s_delay_alu instid0(VALU_DEP_4) | instskip(SKIP_1) | instid1(VALU_DEP_4)
	v_fma_f32 v134, 0x3f6eb680, v138, -v135
	v_fmac_f32_e32 v135, 0x3f6eb680, v138
	v_fma_f32 v136, 0xbf7ba420, v138, -v63
	s_delay_alu instid0(VALU_DEP_4) | instskip(NEXT) | instid1(VALU_DEP_4)
	v_dual_fmac_f32 v63, 0xbf7ba420, v138 :: v_dual_add_f32 v60, v137, v60
	v_add_f32_e32 v134, v134, v22
	s_delay_alu instid0(VALU_DEP_4) | instskip(NEXT) | instid1(VALU_DEP_3)
	v_dual_mul_f32 v22, 0x3f2c7751, v54 :: v_dual_add_f32 v61, v135, v61
	v_add_f32_e32 v52, v63, v52
	v_dual_sub_f32 v63, v89, v84 :: v_dual_add_f32 v62, v136, v62
	s_delay_alu instid0(VALU_DEP_3) | instskip(SKIP_2) | instid1(VALU_DEP_4)
	v_fma_f32 v135, 0x3f3d2fb0, v138, -v22
	v_fmac_f32_e32 v22, 0x3f3d2fb0, v138
	v_add_f32_e32 v136, v90, v83
	v_mul_f32_e32 v137, 0xbe3c28d5, v63
	s_delay_alu instid0(VALU_DEP_4) | instskip(NEXT) | instid1(VALU_DEP_4)
	v_dual_mul_f32 v54, 0xbf763a35, v54 :: v_dual_add_f32 v65, v135, v65
	v_dual_add_f32 v64, v22, v64 :: v_dual_mul_f32 v135, 0x3eb8f4ab, v63
	s_delay_alu instid0(VALU_DEP_3) | instskip(NEXT) | instid1(VALU_DEP_3)
	v_fma_f32 v22, 0xbf7ba420, v136, -v137
	v_fma_f32 v139, 0xbe8c1d8e, v138, -v54
	v_fmac_f32_e32 v54, 0xbe8c1d8e, v138
	v_fmac_f32_e32 v137, 0xbf7ba420, v136
	s_delay_alu instid0(VALU_DEP_4) | instskip(SKIP_1) | instid1(VALU_DEP_4)
	v_add_f32_e32 v138, v22, v20
	v_mul_f32_e32 v20, 0xbf06c442, v63
	v_add_f32_e32 v19, v54, v19
	v_fma_f32 v22, 0x3f6eb680, v136, -v135
	v_fmac_f32_e32 v135, 0x3f6eb680, v136
	v_dual_add_f32 v21, v137, v21 :: v_dual_mul_f32 v54, 0x3f2c7751, v63
	v_fma_f32 v137, 0xbf59a7d5, v136, -v20
	v_dual_fmac_f32 v20, 0xbf59a7d5, v136 :: v_dual_add_f32 v55, v139, v55
	s_delay_alu instid0(VALU_DEP_4) | instskip(NEXT) | instid1(VALU_DEP_4)
	v_dual_add_f32 v139, v22, v23 :: v_dual_add_f32 v22, v135, v50
	v_fma_f32 v50, 0x3f3d2fb0, v136, -v54
	s_delay_alu instid0(VALU_DEP_4)
	v_add_f32_e32 v135, v137, v51
	v_mul_f32_e32 v51, 0xbf4c4adb, v63
	v_add_f32_e32 v23, v20, v53
	v_mul_f32_e32 v53, 0x3f65296c, v63
	v_fmac_f32_e32 v54, 0x3f3d2fb0, v136
	v_add_f32_e32 v137, v50, v56
	v_fma_f32 v20, 0xbf1a4643, v136, -v51
	v_fmac_f32_e32 v51, 0xbf1a4643, v136
	v_fma_f32 v56, 0x3ee437d1, v136, -v53
	v_add_f32_e32 v50, v54, v60
	v_mul_f32_e32 v54, 0xbf763a35, v63
	v_dual_add_f32 v60, v20, v134 :: v_dual_fmac_f32 v53, 0x3ee437d1, v136
	s_delay_alu instid0(VALU_DEP_4) | instskip(SKIP_1) | instid1(VALU_DEP_4)
	v_add_f32_e32 v20, v56, v62
	v_dual_mul_f32 v56, 0x3f7ee86f, v63 :: v_dual_add_f32 v51, v51, v61
	v_fma_f32 v61, 0xbe8c1d8e, v136, -v54
	s_delay_alu instid0(VALU_DEP_4) | instskip(SKIP_1) | instid1(VALU_DEP_4)
	v_add_f32_e32 v52, v53, v52
	v_fmac_f32_e32 v54, 0xbe8c1d8e, v136
	v_fma_f32 v62, 0x3dbcf732, v136, -v56
	s_delay_alu instid0(VALU_DEP_4) | instskip(NEXT) | instid1(VALU_DEP_3)
	v_dual_fmac_f32 v56, 0x3dbcf732, v136 :: v_dual_add_f32 v53, v61, v65
	v_dual_sub_f32 v61, v100, v49 :: v_dual_add_f32 v54, v54, v64
	s_delay_alu instid0(VALU_DEP_2) | instskip(SKIP_1) | instid1(VALU_DEP_3)
	v_dual_add_f32 v63, v103, v48 :: v_dual_add_f32 v56, v56, v19
	v_and_b32_e32 v19, 0xffff, v132
	v_dual_mul_f32 v64, 0xbeb8f4ab, v61 :: v_dual_add_f32 v55, v62, v55
	v_mul_f32_e32 v62, 0xbf2c7751, v61
	v_mul_f32_e32 v132, 0xbf65296c, v61
	s_delay_alu instid0(VALU_DEP_4)
	v_mad_u32_u24 v19, 0x1dc, v19, 0
	v_mul_f32_e32 v140, 0xbf7ee86f, v61
	v_fma_f32 v65, 0x3f6eb680, v63, -v64
	v_fma_f32 v134, 0x3f3d2fb0, v63, -v62
	;; [unrolled: 1-line block ×3, first 2 shown]
	v_add3_u32 v19, v19, v133, v121
	v_mul_f32_e32 v133, 0xbf763a35, v61
	v_fmac_f32_e32 v64, 0x3f6eb680, v63
	v_fmac_f32_e32 v62, 0x3f3d2fb0, v63
	;; [unrolled: 1-line block ×3, first 2 shown]
	ds_store_2addr_b32 v19, v57, v138 offset1:7
	v_fma_f32 v57, 0x3dbcf732, v63, -v140
	v_fmac_f32_e32 v140, 0x3dbcf732, v63
	ds_store_2addr_b32 v19, v139, v135 offset0:14 offset1:21
	v_mul_f32_e32 v135, 0xbf4c4adb, v61
	v_mul_f32_e32 v139, 0xbf06c442, v61
	;; [unrolled: 1-line block ×3, first 2 shown]
	v_fma_f32 v138, 0xbe8c1d8e, v63, -v133
	v_fmac_f32_e32 v133, 0xbe8c1d8e, v63
	ds_store_2addr_b32 v19, v137, v60 offset0:28 offset1:35
	v_fma_f32 v60, 0xbf1a4643, v63, -v135
	v_fmac_f32_e32 v135, 0xbf1a4643, v63
	v_fma_f32 v137, 0xbf59a7d5, v63, -v139
	v_fmac_f32_e32 v139, 0xbf59a7d5, v63
	;; [unrolled: 2-line block ×3, first 2 shown]
	v_add_f32_e32 v63, v6, v65
	v_add_f32_e32 v65, v6, v134
	;; [unrolled: 1-line block ×4, first 2 shown]
	v_sub_f32_e32 v140, v98, v38
	v_add_f32_e32 v64, v6, v64
	v_add_f32_e32 v62, v6, v62
	v_add_f32_e32 v132, v6, v132
	v_add_f32_e32 v57, v6, v57
	v_mul_f32_e32 v143, 0xbf2c7751, v140
	v_mul_f32_e32 v144, 0xbf7ee86f, v140
	;; [unrolled: 1-line block ×3, first 2 shown]
	v_add_f32_e32 v60, v6, v60
	v_add_f32_e32 v138, v6, v138
	v_fma_f32 v145, 0x3f3d2fb0, v142, -v143
	v_fmac_f32_e32 v143, 0x3f3d2fb0, v142
	v_fma_f32 v147, 0x3dbcf732, v142, -v144
	v_dual_fmac_f32 v144, 0x3dbcf732, v142 :: v_dual_add_f32 v133, v6, v133
	s_delay_alu instid0(VALU_DEP_3) | instskip(SKIP_4) | instid1(VALU_DEP_4)
	v_dual_add_f32 v63, v145, v63 :: v_dual_add_f32 v64, v143, v64
	v_fma_f32 v143, 0xbf1a4643, v142, -v146
	v_mul_f32_e32 v145, 0xbe3c28d5, v140
	v_fmac_f32_e32 v146, 0xbf1a4643, v142
	v_dual_add_f32 v62, v144, v62 :: v_dual_add_f32 v135, v6, v135
	v_add_f32_e32 v134, v143, v134
	s_delay_alu instid0(VALU_DEP_4) | instskip(NEXT) | instid1(VALU_DEP_4)
	v_fma_f32 v144, 0xbf7ba420, v142, -v145
	v_add_f32_e32 v132, v146, v132
	v_mul_f32_e32 v146, 0x3f763a35, v140
	v_mul_f32_e32 v143, 0x3f06c442, v140
	v_fmac_f32_e32 v145, 0xbf7ba420, v142
	v_add_f32_e32 v57, v144, v57
	v_add_f32_e32 v65, v147, v65
	v_fma_f32 v144, 0xbe8c1d8e, v142, -v146
	v_fma_f32 v147, 0xbf59a7d5, v142, -v143
	v_dual_fmac_f32 v143, 0xbf59a7d5, v142 :: v_dual_add_f32 v136, v145, v136
	v_mul_f32_e32 v145, 0x3f65296c, v140
	s_delay_alu instid0(VALU_DEP_4)
	v_add_f32_e32 v60, v144, v60
	v_mul_f32_e32 v140, 0x3eb8f4ab, v140
	v_fmac_f32_e32 v146, 0xbe8c1d8e, v142
	v_dual_sub_f32 v144, v96, v45 :: v_dual_add_f32 v139, v6, v139
	v_dual_add_f32 v61, v6, v61 :: v_dual_add_f32 v138, v147, v138
	v_add_f32_e32 v133, v143, v133
	v_fma_f32 v143, 0x3ee437d1, v142, -v145
	v_fmac_f32_e32 v145, 0x3ee437d1, v142
	v_fma_f32 v147, 0x3f6eb680, v142, -v140
	v_dual_fmac_f32 v140, 0x3f6eb680, v142 :: v_dual_add_f32 v135, v146, v135
	v_add_f32_e32 v142, v97, v36
	s_delay_alu instid0(VALU_DEP_4) | instskip(NEXT) | instid1(VALU_DEP_3)
	v_dual_mul_f32 v146, 0xbf65296c, v144 :: v_dual_add_f32 v139, v145, v139
	v_dual_add_f32 v61, v140, v61 :: v_dual_mul_f32 v140, 0x3e3c28d5, v144
	s_delay_alu instid0(VALU_DEP_2) | instskip(NEXT) | instid1(VALU_DEP_1)
	v_fma_f32 v145, 0x3ee437d1, v142, -v146
	v_dual_fmac_f32 v146, 0x3ee437d1, v142 :: v_dual_add_f32 v63, v145, v63
	s_delay_alu instid0(VALU_DEP_1) | instskip(NEXT) | instid1(VALU_DEP_4)
	v_add_f32_e32 v64, v146, v64
	v_fma_f32 v145, 0xbf7ba420, v142, -v140
	v_mul_f32_e32 v146, 0x3f763a35, v144
	v_fmac_f32_e32 v140, 0xbf7ba420, v142
	s_delay_alu instid0(VALU_DEP_3) | instskip(NEXT) | instid1(VALU_DEP_3)
	v_add_f32_e32 v134, v145, v134
	v_fma_f32 v145, 0xbe8c1d8e, v142, -v146
	s_delay_alu instid0(VALU_DEP_3) | instskip(SKIP_1) | instid1(VALU_DEP_3)
	v_add_f32_e32 v132, v140, v132
	v_dual_mul_f32 v140, 0xbeb8f4ab, v144 :: v_dual_add_f32 v141, v6, v141
	v_dual_fmac_f32 v146, 0xbe8c1d8e, v142 :: v_dual_add_f32 v57, v145, v57
	ds_store_2addr_b32 v19, v20, v53 offset0:42 offset1:49
	ds_store_2addr_b32 v19, v55, v56 offset0:56 offset1:63
	v_fma_f32 v145, 0x3f6eb680, v142, -v140
	v_dual_fmac_f32 v140, 0x3f6eb680, v142 :: v_dual_add_f32 v141, v147, v141
	v_add_f32_e32 v136, v146, v136
	v_mul_f32_e32 v146, 0xbf7ee86f, v144
	s_delay_alu instid0(VALU_DEP_3) | instskip(SKIP_4) | instid1(VALU_DEP_3)
	v_dual_add_f32 v60, v145, v60 :: v_dual_add_f32 v135, v140, v135
	v_add_f32_e32 v140, v86, v30
	v_add_f32_e32 v137, v6, v137
	v_dual_sub_f32 v145, v85, v41 :: v_dual_add_f32 v6, v6, v103
	v_add3_u32 v20, v129, v130, v121
	v_add_f32_e32 v137, v143, v137
	s_delay_alu instid0(VALU_DEP_3) | instskip(NEXT) | instid1(VALU_DEP_1)
	v_dual_mul_f32 v143, 0xbf4c4adb, v144 :: v_dual_add_f32 v6, v6, v99
	v_fma_f32 v147, 0xbf1a4643, v142, -v143
	s_delay_alu instid0(VALU_DEP_2) | instskip(NEXT) | instid1(VALU_DEP_2)
	v_dual_fmac_f32 v143, 0xbf1a4643, v142 :: v_dual_add_f32 v6, v6, v97
	v_add_f32_e32 v65, v147, v65
	s_delay_alu instid0(VALU_DEP_2) | instskip(NEXT) | instid1(VALU_DEP_3)
	v_dual_add_f32 v62, v143, v62 :: v_dual_mul_f32 v143, 0x3f2c7751, v144
	v_add_f32_e32 v6, v6, v86
	s_delay_alu instid0(VALU_DEP_2) | instskip(NEXT) | instid1(VALU_DEP_2)
	v_fma_f32 v147, 0x3f3d2fb0, v142, -v143
	v_dual_fmac_f32 v143, 0x3f3d2fb0, v142 :: v_dual_add_f32 v6, v6, v88
	s_delay_alu instid0(VALU_DEP_2) | instskip(NEXT) | instid1(VALU_DEP_2)
	v_add_f32_e32 v138, v147, v138
	v_add_f32_e32 v133, v143, v133
	v_mul_f32_e32 v143, 0xbf06c442, v144
	v_fma_f32 v144, 0x3dbcf732, v142, -v146
	v_fmac_f32_e32 v146, 0x3dbcf732, v142
	v_add_f32_e32 v6, v6, v46
	s_delay_alu instid0(VALU_DEP_4) | instskip(SKIP_1) | instid1(VALU_DEP_4)
	v_fma_f32 v147, 0xbf59a7d5, v142, -v143
	v_fmac_f32_e32 v143, 0xbf59a7d5, v142
	v_dual_mul_f32 v142, 0xbf7ee86f, v145 :: v_dual_add_f32 v139, v146, v139
	v_add_f32_e32 v137, v144, v137
	v_mul_f32_e32 v144, 0xbe3c28d5, v145
	s_delay_alu instid0(VALU_DEP_4) | instskip(NEXT) | instid1(VALU_DEP_4)
	v_add_f32_e32 v61, v143, v61
	v_fma_f32 v146, 0x3dbcf732, v140, -v142
	v_fmac_f32_e32 v142, 0x3dbcf732, v140
	v_mul_f32_e32 v143, 0x3f763a35, v145
	v_add_f32_e32 v141, v147, v141
	v_fma_f32 v147, 0xbf7ba420, v140, -v144
	v_add_f32_e32 v63, v146, v63
	v_add_f32_e32 v64, v142, v64
	v_fma_f32 v142, 0xbe8c1d8e, v140, -v143
	v_fmac_f32_e32 v144, 0xbf7ba420, v140
	v_mul_f32_e32 v146, 0x3eb8f4ab, v145
	v_fmac_f32_e32 v143, 0xbe8c1d8e, v140
	s_delay_alu instid0(VALU_DEP_4)
	v_dual_add_f32 v65, v147, v65 :: v_dual_add_f32 v134, v142, v134
	v_mul_f32_e32 v142, 0xbf65296c, v145
	v_add_f32_e32 v62, v144, v62
	v_fma_f32 v144, 0x3f6eb680, v140, -v146
	v_dual_add_f32 v132, v143, v132 :: v_dual_mul_f32 v143, 0xbf06c442, v145
	v_fmac_f32_e32 v146, 0x3f6eb680, v140
	v_fma_f32 v147, 0x3ee437d1, v140, -v142
	s_delay_alu instid0(VALU_DEP_4) | instskip(NEXT) | instid1(VALU_DEP_4)
	v_dual_fmac_f32 v142, 0x3ee437d1, v140 :: v_dual_add_f32 v57, v144, v57
	v_fma_f32 v144, 0xbf59a7d5, v140, -v143
	s_delay_alu instid0(VALU_DEP_4) | instskip(SKIP_1) | instid1(VALU_DEP_4)
	v_add_f32_e32 v136, v146, v136
	v_mul_f32_e32 v146, 0x3f4c4adb, v145
	v_add_f32_e32 v133, v142, v133
	v_mul_f32_e32 v142, 0x3f2c7751, v145
	v_fmac_f32_e32 v143, 0xbf59a7d5, v140
	v_sub_f32_e32 v145, v87, v39
	v_add_f32_e32 v138, v147, v138
	v_add_f32_e32 v60, v144, v60
	v_fma_f32 v144, 0xbf1a4643, v140, -v146
	v_fmac_f32_e32 v146, 0xbf1a4643, v140
	v_fma_f32 v147, 0x3f3d2fb0, v140, -v142
	v_dual_fmac_f32 v142, 0x3f3d2fb0, v140 :: v_dual_add_f32 v135, v143, v135
	v_dual_add_f32 v140, v88, v32 :: v_dual_mul_f32 v143, 0xbf763a35, v145
	s_delay_alu instid0(VALU_DEP_4) | instskip(NEXT) | instid1(VALU_DEP_3)
	v_add_f32_e32 v139, v146, v139
	v_add_f32_e32 v61, v142, v61
	v_mul_f32_e32 v142, 0x3f2c7751, v145
	v_add_f32_e32 v137, v144, v137
	v_fma_f32 v146, 0xbe8c1d8e, v140, -v143
	v_fmac_f32_e32 v143, 0xbe8c1d8e, v140
	v_mul_f32_e32 v144, 0x3f06c442, v145
	v_dual_add_f32 v141, v147, v141 :: v_dual_add_f32 v6, v6, v44
	s_delay_alu instid0(VALU_DEP_3) | instskip(SKIP_1) | instid1(VALU_DEP_4)
	v_dual_add_f32 v63, v146, v63 :: v_dual_add_f32 v64, v143, v64
	v_fma_f32 v143, 0x3f3d2fb0, v140, -v142
	v_fma_f32 v147, 0xbf59a7d5, v140, -v144
	v_fmac_f32_e32 v144, 0xbf59a7d5, v140
	v_mul_f32_e32 v146, 0xbf65296c, v145
	v_fmac_f32_e32 v142, 0x3f3d2fb0, v140
	v_dual_add_f32 v134, v143, v134 :: v_dual_mul_f32 v143, 0xbe3c28d5, v145
	s_delay_alu instid0(VALU_DEP_4) | instskip(NEXT) | instid1(VALU_DEP_4)
	v_dual_add_f32 v65, v147, v65 :: v_dual_add_f32 v62, v144, v62
	v_fma_f32 v144, 0x3ee437d1, v140, -v146
	s_delay_alu instid0(VALU_DEP_4)
	v_add_f32_e32 v132, v142, v132
	v_mul_f32_e32 v142, 0x3f7ee86f, v145
	v_fmac_f32_e32 v146, 0x3ee437d1, v140
	v_fma_f32 v147, 0xbf7ba420, v140, -v143
	v_fmac_f32_e32 v143, 0xbf7ba420, v140
	v_add_f32_e32 v57, v144, v57
	v_fma_f32 v144, 0x3dbcf732, v140, -v142
	v_add_f32_e32 v136, v146, v136
	v_mul_f32_e32 v146, 0xbeb8f4ab, v145
	v_add_f32_e32 v133, v143, v133
	v_mul_f32_e32 v143, 0xbf4c4adb, v145
	v_dual_fmac_f32 v142, 0x3dbcf732, v140 :: v_dual_sub_f32 v145, v47, v33
	v_add_f32_e32 v138, v147, v138
	v_add_f32_e32 v60, v144, v60
	v_fma_f32 v144, 0x3f6eb680, v140, -v146
	v_fmac_f32_e32 v146, 0x3f6eb680, v140
	v_fma_f32 v147, 0xbf1a4643, v140, -v143
	v_fmac_f32_e32 v143, 0xbf1a4643, v140
	v_add_f32_e32 v135, v142, v135
	v_add_f32_e32 v140, v46, v34
	v_mul_f32_e32 v142, 0xbf4c4adb, v145
	v_add_f32_e32 v137, v144, v137
	v_dual_mul_f32 v144, 0x3f763a35, v145 :: v_dual_add_f32 v139, v146, v139
	v_add_f32_e32 v61, v143, v61
	s_delay_alu instid0(VALU_DEP_4)
	v_fma_f32 v146, 0xbf1a4643, v140, -v142
	v_fmac_f32_e32 v142, 0xbf1a4643, v140
	v_mul_f32_e32 v143, 0xbeb8f4ab, v145
	v_add_f32_e32 v141, v147, v141
	v_fma_f32 v147, 0xbe8c1d8e, v140, -v144
	v_fmac_f32_e32 v144, 0xbe8c1d8e, v140
	v_add_f32_e32 v64, v142, v64
	v_fma_f32 v142, 0x3f6eb680, v140, -v143
	v_fmac_f32_e32 v143, 0x3f6eb680, v140
	s_delay_alu instid0(VALU_DEP_4) | instskip(SKIP_1) | instid1(VALU_DEP_4)
	v_dual_add_f32 v65, v147, v65 :: v_dual_add_f32 v62, v144, v62
	v_add_f32_e32 v6, v6, v40
	v_add_f32_e32 v134, v142, v134
	v_dual_mul_f32 v142, 0x3f7ee86f, v145 :: v_dual_add_f32 v63, v146, v63
	v_mul_f32_e32 v146, 0xbf06c442, v145
	v_dual_add_f32 v132, v143, v132 :: v_dual_mul_f32 v143, 0xbf2c7751, v145
	s_delay_alu instid0(VALU_DEP_3) | instskip(SKIP_1) | instid1(VALU_DEP_4)
	v_fma_f32 v147, 0x3dbcf732, v140, -v142
	v_fmac_f32_e32 v142, 0x3dbcf732, v140
	v_fma_f32 v144, 0xbf59a7d5, v140, -v146
	v_fmac_f32_e32 v146, 0xbf59a7d5, v140
	v_add_f32_e32 v6, v6, v29
	s_delay_alu instid0(VALU_DEP_4) | instskip(NEXT) | instid1(VALU_DEP_4)
	v_dual_add_f32 v138, v147, v138 :: v_dual_add_f32 v133, v142, v133
	v_add_f32_e32 v57, v144, v57
	v_fma_f32 v144, 0x3f3d2fb0, v140, -v143
	v_add_f32_e32 v136, v146, v136
	v_mul_f32_e32 v146, 0xbe3c28d5, v145
	v_mul_f32_e32 v142, 0x3f65296c, v145
	v_fmac_f32_e32 v143, 0x3f3d2fb0, v140
	v_dual_sub_f32 v145, v43, v37 :: v_dual_add_f32 v60, v144, v60
	s_delay_alu instid0(VALU_DEP_4) | instskip(SKIP_4) | instid1(VALU_DEP_4)
	v_fma_f32 v144, 0xbf7ba420, v140, -v146
	v_fmac_f32_e32 v146, 0xbf7ba420, v140
	v_fma_f32 v147, 0x3ee437d1, v140, -v142
	v_dual_fmac_f32 v142, 0x3ee437d1, v140 :: v_dual_add_f32 v135, v143, v135
	v_dual_add_f32 v140, v44, v31 :: v_dual_mul_f32 v143, 0xbf06c442, v145
	v_add_f32_e32 v139, v146, v139
	s_delay_alu instid0(VALU_DEP_3)
	v_add_f32_e32 v61, v142, v61
	v_mul_f32_e32 v142, 0xbf7ee86f, v145
	v_add_f32_e32 v137, v144, v137
	v_fma_f32 v146, 0xbf59a7d5, v140, -v143
	v_fmac_f32_e32 v143, 0xbf59a7d5, v140
	v_mul_f32_e32 v144, 0x3f65296c, v145
	v_add_f32_e32 v6, v6, v31
	s_delay_alu instid0(VALU_DEP_3) | instskip(SKIP_4) | instid1(VALU_DEP_4)
	v_dual_add_f32 v63, v146, v63 :: v_dual_add_f32 v64, v143, v64
	v_fma_f32 v143, 0x3dbcf732, v140, -v142
	v_fmac_f32_e32 v142, 0x3dbcf732, v140
	v_mul_f32_e32 v146, 0x3f4c4adb, v145
	v_add_f32_e32 v6, v6, v34
	v_add_f32_e32 v134, v143, v134
	v_add_f32_e32 v141, v147, v141
	v_fma_f32 v147, 0x3ee437d1, v140, -v144
	v_fmac_f32_e32 v144, 0x3ee437d1, v140
	v_dual_mul_f32 v143, 0xbeb8f4ab, v145 :: v_dual_add_f32 v132, v142, v132
	v_fma_f32 v142, 0xbf1a4643, v140, -v146
	s_delay_alu instid0(VALU_DEP_3) | instskip(SKIP_1) | instid1(VALU_DEP_4)
	v_dual_add_f32 v65, v147, v65 :: v_dual_add_f32 v62, v144, v62
	v_mul_f32_e32 v144, 0xbe3c28d5, v145
	v_fma_f32 v147, 0x3f6eb680, v140, -v143
	s_delay_alu instid0(VALU_DEP_4) | instskip(SKIP_1) | instid1(VALU_DEP_4)
	v_dual_fmac_f32 v146, 0xbf1a4643, v140 :: v_dual_add_f32 v57, v142, v57
	v_add_f32_e32 v6, v6, v32
	v_fma_f32 v142, 0xbf7ba420, v140, -v144
	s_delay_alu instid0(VALU_DEP_4) | instskip(NEXT) | instid1(VALU_DEP_4)
	v_dual_add_f32 v138, v147, v138 :: v_dual_fmac_f32 v143, 0x3f6eb680, v140
	v_add_f32_e32 v136, v146, v136
	v_fmac_f32_e32 v144, 0xbf7ba420, v140
	s_delay_alu instid0(VALU_DEP_4) | instskip(SKIP_4) | instid1(VALU_DEP_4)
	v_add_f32_e32 v60, v142, v60
	v_dual_mul_f32 v142, 0xbf763a35, v145 :: v_dual_sub_f32 v147, v42, v35
	v_add_f32_e32 v133, v143, v133
	v_mul_f32_e32 v143, 0x3f2c7751, v145
	v_add_f32_e32 v135, v144, v135
	v_fma_f32 v146, 0xbe8c1d8e, v140, -v142
	v_fmac_f32_e32 v142, 0xbe8c1d8e, v140
	v_mul_f32_e32 v144, 0xbe3c28d5, v147
	v_fma_f32 v145, 0x3f3d2fb0, v140, -v143
	v_dual_fmac_f32 v143, 0x3f3d2fb0, v140 :: v_dual_add_f32 v6, v6, v30
	v_add_f32_e32 v140, v40, v29
	v_add_f32_e32 v61, v142, v61
	s_delay_alu instid0(VALU_DEP_3) | instskip(NEXT) | instid1(VALU_DEP_3)
	v_dual_add_f32 v139, v143, v139 :: v_dual_add_f32 v6, v6, v36
	v_fma_f32 v143, 0xbf7ba420, v140, -v144
	v_fmac_f32_e32 v144, 0xbf7ba420, v140
	s_delay_alu instid0(VALU_DEP_2) | instskip(NEXT) | instid1(VALU_DEP_2)
	v_dual_add_f32 v6, v6, v58 :: v_dual_add_f32 v63, v143, v63
	v_add_f32_e32 v64, v144, v64
	v_dual_mul_f32 v144, 0x3f2c7751, v147 :: v_dual_add_f32 v137, v145, v137
	v_mul_f32_e32 v145, 0x3eb8f4ab, v147
	s_delay_alu instid0(VALU_DEP_4) | instskip(NEXT) | instid1(VALU_DEP_2)
	v_dual_mul_f32 v143, 0xbf06c442, v147 :: v_dual_add_f32 v6, v6, v48
	v_fma_f32 v142, 0x3f6eb680, v140, -v145
	v_fmac_f32_e32 v145, 0x3f6eb680, v140
	s_delay_alu instid0(VALU_DEP_2) | instskip(NEXT) | instid1(VALU_DEP_4)
	v_add_f32_e32 v65, v142, v65
	v_fma_f32 v142, 0xbf59a7d5, v140, -v143
	s_delay_alu instid0(VALU_DEP_3) | instskip(NEXT) | instid1(VALU_DEP_2)
	v_dual_add_f32 v62, v145, v62 :: v_dual_fmac_f32 v143, 0xbf59a7d5, v140
	v_dual_mul_f32 v145, 0xbf4c4adb, v147 :: v_dual_add_f32 v134, v142, v134
	v_fma_f32 v142, 0x3f3d2fb0, v140, -v144
	s_delay_alu instid0(VALU_DEP_3)
	v_add_f32_e32 v132, v143, v132
	v_fmac_f32_e32 v144, 0x3f3d2fb0, v140
	v_mul_f32_e32 v143, 0x3f65296c, v147
	v_add_f32_e32 v141, v146, v141
	v_add_f32_e32 v57, v142, v57
	v_fma_f32 v142, 0xbf1a4643, v140, -v145
	v_add_f32_e32 v136, v144, v136
	v_fmac_f32_e32 v145, 0xbf1a4643, v140
	v_mul_f32_e32 v144, 0xbf763a35, v147
	s_delay_alu instid0(VALU_DEP_4) | instskip(SKIP_1) | instid1(VALU_DEP_4)
	v_add_f32_e32 v138, v142, v138
	v_fma_f32 v142, 0x3ee437d1, v140, -v143
	v_add_f32_e32 v133, v145, v133
	v_mul_f32_e32 v145, 0x3f7ee86f, v147
	v_fmac_f32_e32 v143, 0x3ee437d1, v140
	s_delay_alu instid0(VALU_DEP_4) | instskip(SKIP_1) | instid1(VALU_DEP_3)
	v_add_f32_e32 v60, v142, v60
	v_fma_f32 v142, 0xbe8c1d8e, v140, -v144
	v_dual_fmac_f32 v144, 0xbe8c1d8e, v140 :: v_dual_add_f32 v135, v143, v135
	s_delay_alu instid0(VALU_DEP_2) | instskip(SKIP_2) | instid1(VALU_DEP_2)
	v_add_f32_e32 v137, v142, v137
	v_fma_f32 v142, 0x3dbcf732, v140, -v145
	v_fmac_f32_e32 v145, 0x3dbcf732, v140
	v_dual_add_f32 v139, v144, v139 :: v_dual_add_f32 v140, v142, v141
	s_delay_alu instid0(VALU_DEP_2)
	v_add_f32_e32 v61, v145, v61
	ds_store_2addr_b32 v19, v54, v52 offset0:70 offset1:77
	ds_store_2addr_b32 v19, v51, v50 offset0:84 offset1:91
	;; [unrolled: 1-line block ×3, first 2 shown]
	ds_store_b32 v19, v21 offset:448
	ds_store_2addr_b32 v20, v6, v63 offset1:7
	ds_store_2addr_b32 v20, v65, v134 offset0:14 offset1:21
	ds_store_2addr_b32 v20, v57, v138 offset0:28 offset1:35
	;; [unrolled: 1-line block ×4, first 2 shown]
	v_lshlrev_b32_e32 v6, 2, v131
	ds_store_2addr_b32 v20, v139, v135 offset0:70 offset1:77
	ds_store_2addr_b32 v20, v133, v136 offset0:84 offset1:91
	;; [unrolled: 1-line block ×3, first 2 shown]
	ds_store_b32 v20, v64 offset:448
	s_and_saveexec_b32 s1, s0
	s_cbranch_execz .LBB0_16
; %bb.15:
	v_dual_sub_f32 v57, v80, v79 :: v_dual_add_f32 v52, v82, v18
	v_dual_add_f32 v23, v81, v11 :: v_dual_sub_f32 v60, v78, v77
	s_delay_alu instid0(VALU_DEP_2) | instskip(SKIP_2) | instid1(VALU_DEP_3)
	v_dual_add_f32 v21, v76, v10 :: v_dual_mul_f32 v64, 0xbe3c28d5, v57
	v_dual_sub_f32 v61, v74, v75 :: v_dual_add_f32 v50, v15, v16
	v_dual_add_f32 v22, v70, v17 :: v_dual_sub_f32 v55, v73, v28
	v_dual_fmamk_f32 v51, v52, 0xbf7ba420, v64 :: v_dual_sub_f32 v56, v71, v68
	v_mul_f32_e32 v65, 0x3eb8f4ab, v60
	v_fma_f32 v64, 0xbf7ba420, v52, -v64
	s_delay_alu instid0(VALU_DEP_4) | instskip(NEXT) | instid1(VALU_DEP_4)
	v_mul_f32_e32 v130, 0x3f2c7751, v55
	v_dual_add_f32 v54, v4, v51 :: v_dual_add_f32 v51, v13, v14
	v_sub_f32_e32 v62, v67, v69
	v_fmamk_f32 v53, v23, 0x3f6eb680, v65
	v_mul_f32_e32 v129, 0xbf06c442, v61
	v_fma_f32 v65, 0x3f6eb680, v23, -v65
	v_dual_add_f32 v64, v4, v64 :: v_dual_sub_f32 v63, v9, v66
	v_mul_f32_e32 v132, 0xbf4c4adb, v56
	v_add_f32_e32 v54, v53, v54
	v_fmamk_f32 v131, v21, 0xbf59a7d5, v129
	v_add_f32_e32 v53, v8, v12
	v_dual_fmamk_f32 v133, v22, 0x3f3d2fb0, v130 :: v_dual_add_f32 v64, v65, v64
	v_fma_f32 v129, 0xbf59a7d5, v21, -v129
	s_delay_alu instid0(VALU_DEP_4) | instskip(SKIP_2) | instid1(VALU_DEP_4)
	v_add_f32_e32 v131, v131, v54
	v_fma_f32 v130, 0x3f3d2fb0, v22, -v130
	v_dual_fmamk_f32 v135, v50, 0xbf1a4643, v132 :: v_dual_add_f32 v54, v1, v5
	v_add_f32_e32 v64, v129, v64
	s_delay_alu instid0(VALU_DEP_4) | instskip(SKIP_2) | instid1(VALU_DEP_4)
	v_dual_mul_f32 v134, 0x3f65296c, v62 :: v_dual_add_f32 v131, v133, v131
	v_mul_f32_e32 v133, 0xbf763a35, v63
	v_dual_sub_f32 v129, v3, v7 :: v_dual_mul_f32 v138, 0xbf7ee86f, v61
	v_add_f32_e32 v64, v130, v64
	v_fma_f32 v130, 0xbf1a4643, v50, -v132
	v_fmamk_f32 v136, v51, 0x3ee437d1, v134
	v_mul_f32_e32 v65, 0xbf06c442, v57
	v_mul_f32_e32 v139, 0x3f4c4adb, v55
	v_mul_f32_e32 v132, 0x3f7ee86f, v129
	v_dual_add_f32 v64, v130, v64 :: v_dual_add_f32 v131, v135, v131
	v_fma_f32 v130, 0x3ee437d1, v51, -v134
	v_fmamk_f32 v135, v53, 0xbe8c1d8e, v133
	s_delay_alu instid0(VALU_DEP_4) | instskip(SKIP_1) | instid1(VALU_DEP_4)
	v_fmamk_f32 v134, v54, 0x3dbcf732, v132
	v_mul_f32_e32 v141, 0xbeb8f4ab, v61
	v_dual_add_f32 v131, v136, v131 :: v_dual_add_f32 v64, v130, v64
	v_fmamk_f32 v136, v52, 0xbf59a7d5, v65
	v_fma_f32 v130, 0xbe8c1d8e, v53, -v133
	v_fma_f32 v65, 0xbf59a7d5, v52, -v65
	s_delay_alu instid0(VALU_DEP_4) | instskip(NEXT) | instid1(VALU_DEP_4)
	v_add_f32_e32 v131, v135, v131
	v_dual_mul_f32 v143, 0x3f2c7751, v61 :: v_dual_add_f32 v136, v4, v136
	s_delay_alu instid0(VALU_DEP_4) | instskip(SKIP_1) | instid1(VALU_DEP_4)
	v_add_f32_e32 v64, v130, v64
	v_fma_f32 v130, 0x3dbcf732, v54, -v132
	v_add_f32_e32 v131, v134, v131
	v_fmamk_f32 v134, v22, 0xbf1a4643, v139
	v_mul_f32_e32 v135, 0x3f65296c, v60
	s_delay_alu instid0(VALU_DEP_4) | instskip(SKIP_2) | instid1(VALU_DEP_4)
	v_dual_add_f32 v65, v4, v65 :: v_dual_add_f32 v64, v130, v64
	v_mul_f32_e32 v144, 0xbf65296c, v55
	v_mul_f32_e32 v146, 0xbf4c4adb, v60
	v_fmamk_f32 v137, v23, 0x3ee437d1, v135
	s_delay_alu instid0(VALU_DEP_1) | instskip(SKIP_1) | instid1(VALU_DEP_1)
	v_add_f32_e32 v136, v137, v136
	v_fmamk_f32 v137, v21, 0x3dbcf732, v138
	v_add_f32_e32 v133, v137, v136
	s_delay_alu instid0(VALU_DEP_1) | instskip(SKIP_2) | instid1(VALU_DEP_2)
	v_dual_mul_f32 v137, 0x3f2c7751, v63 :: v_dual_add_f32 v132, v134, v133
	v_fma_f32 v130, 0x3ee437d1, v23, -v135
	v_mul_f32_e32 v136, 0xbeb8f4ab, v56
	v_dual_mul_f32 v134, 0xbe3c28d5, v62 :: v_dual_add_f32 v65, v130, v65
	v_fma_f32 v130, 0x3dbcf732, v21, -v138
	s_delay_alu instid0(VALU_DEP_1) | instskip(SKIP_2) | instid1(VALU_DEP_1)
	v_dual_mul_f32 v138, 0x3f763a35, v60 :: v_dual_add_f32 v65, v130, v65
	v_fmamk_f32 v140, v53, 0x3f3d2fb0, v137
	v_fmamk_f32 v133, v50, 0x3f6eb680, v136
	v_dual_add_f32 v132, v133, v132 :: v_dual_fmamk_f32 v133, v51, 0xbf7ba420, v134
	v_mul_f32_e32 v135, 0xbf4c4adb, v57
	v_fma_f32 v130, 0xbf1a4643, v22, -v139
	v_fmamk_f32 v139, v23, 0xbe8c1d8e, v138
	v_fma_f32 v138, 0xbe8c1d8e, v23, -v138
	s_delay_alu instid0(VALU_DEP_4) | instskip(NEXT) | instid1(VALU_DEP_4)
	v_dual_add_f32 v132, v133, v132 :: v_dual_fmamk_f32 v133, v52, 0xbf1a4643, v135
	v_add_f32_e32 v65, v130, v65
	v_fma_f32 v130, 0x3f6eb680, v50, -v136
	v_fmamk_f32 v136, v21, 0x3f6eb680, v141
	s_delay_alu instid0(VALU_DEP_4)
	v_add_f32_e32 v132, v140, v132
	v_add_f32_e32 v133, v4, v133
	v_fma_f32 v135, 0xbf1a4643, v52, -v135
	v_add_f32_e32 v65, v130, v65
	v_fma_f32 v130, 0xbf7ba420, v51, -v134
	v_mul_f32_e32 v140, 0xbf763a35, v129
	v_add_f32_e32 v133, v139, v133
	v_mul_f32_e32 v139, 0xbf06c442, v55
	v_add_f32_e32 v135, v4, v135
	s_delay_alu instid0(VALU_DEP_2) | instskip(SKIP_3) | instid1(VALU_DEP_4)
	v_dual_add_f32 v133, v136, v133 :: v_dual_fmamk_f32 v134, v22, 0xbf59a7d5, v139
	v_dual_mul_f32 v136, 0x3f7ee86f, v56 :: v_dual_add_f32 v65, v130, v65
	v_fma_f32 v130, 0x3f3d2fb0, v53, -v137
	v_mul_f32_e32 v137, 0xbf2c7751, v62
	v_add_f32_e32 v133, v134, v133
	s_delay_alu instid0(VALU_DEP_4)
	v_fmamk_f32 v134, v50, 0x3dbcf732, v136
	v_add_f32_e32 v135, v138, v135
	v_add_f32_e32 v65, v130, v65
	v_fmamk_f32 v142, v54, 0xbe8c1d8e, v140
	v_fma_f32 v140, 0xbe8c1d8e, v54, -v140
	v_fma_f32 v136, 0x3dbcf732, v50, -v136
	s_delay_alu instid0(VALU_DEP_2) | instskip(SKIP_4) | instid1(VALU_DEP_4)
	v_dual_add_f32 v65, v140, v65 :: v_dual_mul_f32 v140, 0x3f06c442, v60
	v_dual_add_f32 v130, v134, v133 :: v_dual_fmamk_f32 v133, v51, 0x3f3d2fb0, v137
	v_mul_f32_e32 v134, 0xbe3c28d5, v63
	v_add_f32_e32 v132, v142, v132
	v_mul_f32_e32 v142, 0xbf763a35, v57
	v_add_f32_e32 v130, v133, v130
	s_delay_alu instid0(VALU_DEP_4) | instskip(SKIP_1) | instid1(VALU_DEP_2)
	v_fmamk_f32 v133, v53, 0xbf7ba420, v134
	v_fma_f32 v134, 0xbf7ba420, v53, -v134
	v_add_f32_e32 v130, v133, v130
	v_fma_f32 v138, 0x3f6eb680, v21, -v141
	v_fmamk_f32 v141, v23, 0xbf59a7d5, v140
	v_fma_f32 v140, 0xbf59a7d5, v23, -v140
	s_delay_alu instid0(VALU_DEP_3) | instskip(SKIP_1) | instid1(VALU_DEP_1)
	v_add_f32_e32 v135, v138, v135
	v_fma_f32 v138, 0xbf59a7d5, v22, -v139
	v_add_f32_e32 v135, v138, v135
	s_delay_alu instid0(VALU_DEP_1) | instskip(SKIP_2) | instid1(VALU_DEP_2)
	v_add_f32_e32 v135, v136, v135
	v_fma_f32 v136, 0x3f3d2fb0, v51, -v137
	v_fmamk_f32 v137, v22, 0x3ee437d1, v144
	v_add_f32_e32 v135, v136, v135
	v_fma_f32 v136, 0xbe8c1d8e, v52, -v142
	s_delay_alu instid0(VALU_DEP_2) | instskip(NEXT) | instid1(VALU_DEP_2)
	v_add_f32_e32 v134, v134, v135
	v_add_f32_e32 v136, v4, v136
	s_delay_alu instid0(VALU_DEP_1) | instskip(SKIP_1) | instid1(VALU_DEP_1)
	v_add_f32_e32 v136, v140, v136
	v_fma_f32 v140, 0x3f3d2fb0, v21, -v143
	v_add_f32_e32 v136, v140, v136
	v_fma_f32 v140, 0x3ee437d1, v22, -v144
	v_mul_f32_e32 v139, 0x3f65296c, v129
	v_mul_f32_e32 v144, 0xbf4c4adb, v129
	s_delay_alu instid0(VALU_DEP_3) | instskip(NEXT) | instid1(VALU_DEP_3)
	v_add_f32_e32 v136, v140, v136
	v_fmamk_f32 v138, v54, 0x3ee437d1, v139
	v_fma_f32 v139, 0x3ee437d1, v54, -v139
	v_fmamk_f32 v133, v52, 0xbe8c1d8e, v142
	v_fmamk_f32 v145, v54, 0xbf1a4643, v144
	v_fma_f32 v144, 0xbf1a4643, v54, -v144
	s_delay_alu instid0(VALU_DEP_3) | instskip(NEXT) | instid1(VALU_DEP_1)
	v_dual_add_f32 v134, v139, v134 :: v_dual_add_f32 v133, v4, v133
	v_add_f32_e32 v133, v141, v133
	v_dual_fmamk_f32 v141, v21, 0x3f3d2fb0, v143 :: v_dual_add_f32 v130, v138, v130
	v_mul_f32_e32 v138, 0xbe3c28d5, v56
	v_mul_f32_e32 v143, 0xbe3c28d5, v60
	s_delay_alu instid0(VALU_DEP_1) | instskip(SKIP_1) | instid1(VALU_DEP_2)
	v_dual_add_f32 v133, v141, v133 :: v_dual_fmamk_f32 v140, v23, 0xbf7ba420, v143
	v_fma_f32 v143, 0xbf7ba420, v23, -v143
	v_add_f32_e32 v133, v137, v133
	v_fmamk_f32 v137, v50, 0xbf7ba420, v138
	v_fma_f32 v138, 0xbf7ba420, v50, -v138
	s_delay_alu instid0(VALU_DEP_2) | instskip(NEXT) | instid1(VALU_DEP_2)
	v_add_f32_e32 v133, v137, v133
	v_dual_mul_f32 v137, 0xbeb8f4ab, v63 :: v_dual_add_f32 v136, v138, v136
	s_delay_alu instid0(VALU_DEP_1) | instskip(SKIP_2) | instid1(VALU_DEP_1)
	v_fmamk_f32 v142, v53, 0x3f6eb680, v137
	v_fma_f32 v137, 0x3f6eb680, v53, -v137
	v_mul_f32_e32 v141, 0x3f7ee86f, v62
	v_fma_f32 v138, 0x3dbcf732, v51, -v141
	s_delay_alu instid0(VALU_DEP_1) | instskip(NEXT) | instid1(VALU_DEP_1)
	v_add_f32_e32 v136, v138, v136
	v_dual_add_f32 v136, v137, v136 :: v_dual_fmamk_f32 v135, v51, 0x3dbcf732, v141
	s_delay_alu instid0(VALU_DEP_1) | instskip(NEXT) | instid1(VALU_DEP_2)
	v_dual_mul_f32 v141, 0x3eb8f4ab, v55 :: v_dual_add_f32 v136, v144, v136
	v_add_f32_e32 v133, v135, v133
	v_mul_f32_e32 v135, 0xbf7ee86f, v57
	v_mul_f32_e32 v144, 0xbf65296c, v57
	s_delay_alu instid0(VALU_DEP_3) | instskip(NEXT) | instid1(VALU_DEP_3)
	v_add_f32_e32 v133, v142, v133
	v_fmamk_f32 v139, v52, 0x3dbcf732, v135
	v_fma_f32 v135, 0x3dbcf732, v52, -v135
	s_delay_alu instid0(VALU_DEP_2) | instskip(NEXT) | instid1(VALU_DEP_2)
	v_dual_mul_f32 v142, 0x3f763a35, v61 :: v_dual_add_f32 v139, v4, v139
	v_add_f32_e32 v135, v4, v135
	s_delay_alu instid0(VALU_DEP_2) | instskip(NEXT) | instid1(VALU_DEP_2)
	v_dual_add_f32 v139, v140, v139 :: v_dual_fmamk_f32 v140, v21, 0xbe8c1d8e, v142
	v_add_f32_e32 v135, v143, v135
	v_fma_f32 v142, 0xbe8c1d8e, v21, -v142
	v_mul_f32_e32 v143, 0x3f2c7751, v129
	s_delay_alu instid0(VALU_DEP_4) | instskip(SKIP_1) | instid1(VALU_DEP_4)
	v_dual_add_f32 v133, v145, v133 :: v_dual_add_f32 v138, v140, v139
	v_fmamk_f32 v139, v22, 0x3f6eb680, v141
	v_dual_mul_f32 v140, 0xbf65296c, v56 :: v_dual_add_f32 v135, v142, v135
	v_fma_f32 v141, 0x3f6eb680, v22, -v141
	v_mul_f32_e32 v145, 0x3f4c4adb, v63
	s_delay_alu instid0(VALU_DEP_4) | instskip(NEXT) | instid1(VALU_DEP_4)
	v_dual_add_f32 v137, v139, v138 :: v_dual_fmamk_f32 v142, v52, 0x3ee437d1, v144
	v_fmamk_f32 v138, v50, 0x3ee437d1, v140
	v_mul_f32_e32 v139, 0xbf06c442, v62
	v_add_f32_e32 v135, v141, v135
	v_fma_f32 v140, 0x3ee437d1, v50, -v140
	v_fmamk_f32 v141, v23, 0xbf1a4643, v146
	s_delay_alu instid0(VALU_DEP_4) | instskip(SKIP_1) | instid1(VALU_DEP_4)
	v_dual_add_f32 v137, v138, v137 :: v_dual_fmamk_f32 v138, v51, 0xbf59a7d5, v139
	v_fma_f32 v146, 0xbf1a4643, v23, -v146
	v_add_f32_e32 v135, v140, v135
	v_fma_f32 v140, 0x3ee437d1, v52, -v144
	s_delay_alu instid0(VALU_DEP_4) | instskip(SKIP_1) | instid1(VALU_DEP_3)
	v_dual_mul_f32 v144, 0x3f763a35, v55 :: v_dual_add_f32 v137, v138, v137
	v_fmamk_f32 v138, v53, 0xbf1a4643, v145
	v_add_f32_e32 v140, v4, v140
	s_delay_alu instid0(VALU_DEP_1) | instskip(NEXT) | instid1(VALU_DEP_3)
	v_add_f32_e32 v140, v146, v140
	v_dual_mul_f32 v146, 0xbeb8f4ab, v62 :: v_dual_add_f32 v137, v138, v137
	v_fmamk_f32 v138, v54, 0x3f3d2fb0, v143
	s_delay_alu instid0(VALU_DEP_1) | instskip(SKIP_1) | instid1(VALU_DEP_2)
	v_dual_add_f32 v137, v138, v137 :: v_dual_add_f32 v138, v4, v142
	v_mul_f32_e32 v142, 0x3e3c28d5, v61
	v_add_f32_e32 v138, v141, v138
	s_delay_alu instid0(VALU_DEP_2) | instskip(SKIP_1) | instid1(VALU_DEP_2)
	v_fmamk_f32 v141, v21, 0xbf7ba420, v142
	v_fma_f32 v142, 0xbf7ba420, v21, -v142
	v_add_f32_e32 v138, v141, v138
	s_delay_alu instid0(VALU_DEP_2) | instskip(SKIP_2) | instid1(VALU_DEP_2)
	v_add_f32_e32 v140, v142, v140
	v_fma_f32 v142, 0xbe8c1d8e, v22, -v144
	v_mul_f32_e32 v141, 0x3f2c7751, v56
	v_add_f32_e32 v140, v142, v140
	v_fma_f32 v139, 0xbf59a7d5, v51, -v139
	s_delay_alu instid0(VALU_DEP_1) | instskip(SKIP_2) | instid1(VALU_DEP_2)
	v_add_f32_e32 v135, v139, v135
	v_fmamk_f32 v139, v22, 0xbe8c1d8e, v144
	v_mul_f32_e32 v144, 0xbf7ee86f, v63
	v_dual_add_f32 v138, v139, v138 :: v_dual_fmamk_f32 v139, v50, 0x3f3d2fb0, v141
	v_fma_f32 v141, 0x3f3d2fb0, v50, -v141
	s_delay_alu instid0(VALU_DEP_2) | instskip(NEXT) | instid1(VALU_DEP_2)
	v_add_f32_e32 v138, v139, v138
	v_dual_fmamk_f32 v139, v51, 0x3f6eb680, v146 :: v_dual_add_f32 v140, v141, v140
	v_fma_f32 v141, 0x3f6eb680, v51, -v146
	v_mul_f32_e32 v146, 0xbe3c28d5, v55
	s_delay_alu instid0(VALU_DEP_3) | instskip(SKIP_4) | instid1(VALU_DEP_3)
	v_dual_mul_f32 v55, 0xbf7ee86f, v55 :: v_dual_add_f32 v138, v139, v138
	v_fma_f32 v145, 0xbf1a4643, v53, -v145
	v_fmamk_f32 v139, v53, 0x3dbcf732, v144
	v_add_f32_e32 v140, v141, v140
	v_fma_f32 v141, 0x3dbcf732, v53, -v144
	v_add_f32_e32 v138, v139, v138
	v_fma_f32 v142, 0x3f3d2fb0, v54, -v143
	s_delay_alu instid0(VALU_DEP_3) | instskip(SKIP_3) | instid1(VALU_DEP_3)
	v_add_f32_e32 v140, v141, v140
	v_add_f32_e32 v135, v145, v135
	v_mul_f32_e32 v143, 0xbf06c442, v129
	v_mul_f32_e32 v145, 0xbf7ee86f, v60
	v_dual_mul_f32 v60, 0xbf2c7751, v60 :: v_dual_add_f32 v135, v142, v135
	v_mul_f32_e32 v142, 0xbf2c7751, v57
	s_delay_alu instid0(VALU_DEP_4) | instskip(SKIP_2) | instid1(VALU_DEP_4)
	v_fmamk_f32 v139, v54, 0xbf59a7d5, v143
	v_fma_f32 v143, 0xbf59a7d5, v54, -v143
	v_mul_f32_e32 v57, 0xbeb8f4ab, v57
	v_fmamk_f32 v144, v52, 0x3f3d2fb0, v142
	s_delay_alu instid0(VALU_DEP_4) | instskip(SKIP_4) | instid1(VALU_DEP_4)
	v_add_f32_e32 v138, v139, v138
	v_fma_f32 v139, 0x3f3d2fb0, v52, -v142
	v_fmamk_f32 v142, v23, 0x3dbcf732, v145
	v_fma_f32 v145, 0x3dbcf732, v23, -v145
	v_dual_add_f32 v141, v4, v144 :: v_dual_mul_f32 v144, 0xbf4c4adb, v61
	v_dual_add_f32 v139, v4, v139 :: v_dual_add_f32 v140, v143, v140
	v_mul_f32_e32 v143, 0x3f06c442, v56
	s_delay_alu instid0(VALU_DEP_3) | instskip(SKIP_2) | instid1(VALU_DEP_3)
	v_dual_add_f32 v141, v142, v141 :: v_dual_fmamk_f32 v142, v21, 0xbf1a4643, v144
	v_fma_f32 v144, 0xbf1a4643, v21, -v144
	v_mul_f32_e32 v61, 0xbf65296c, v61
	v_dual_mul_f32 v56, 0xbf763a35, v56 :: v_dual_add_f32 v141, v142, v141
	v_dual_fmamk_f32 v142, v22, 0xbf7ba420, v146 :: v_dual_add_f32 v139, v145, v139
	v_fma_f32 v145, 0xbf7ba420, v22, -v146
	s_delay_alu instid0(VALU_DEP_2) | instskip(NEXT) | instid1(VALU_DEP_3)
	v_dual_mul_f32 v146, 0x3f763a35, v62 :: v_dual_add_f32 v141, v142, v141
	v_dual_fmamk_f32 v142, v50, 0xbf59a7d5, v143 :: v_dual_add_f32 v139, v144, v139
	v_add_f32_e32 v144, v4, v82
	v_fma_f32 v143, 0xbf59a7d5, v50, -v143
	s_delay_alu instid0(VALU_DEP_3) | instskip(NEXT) | instid1(VALU_DEP_3)
	v_dual_add_f32 v141, v142, v141 :: v_dual_fmamk_f32 v142, v51, 0xbe8c1d8e, v146
	v_dual_add_f32 v144, v144, v81 :: v_dual_add_f32 v139, v145, v139
	v_mul_f32_e32 v145, 0x3f65296c, v63
	s_delay_alu instid0(VALU_DEP_2) | instskip(NEXT) | instid1(VALU_DEP_3)
	v_dual_add_f32 v141, v142, v141 :: v_dual_add_f32 v144, v144, v76
	v_add_f32_e32 v139, v143, v139
	v_fma_f32 v143, 0xbe8c1d8e, v51, -v146
	v_mul_f32_e32 v146, 0x3eb8f4ab, v129
	s_delay_alu instid0(VALU_DEP_2) | instskip(SKIP_1) | instid1(VALU_DEP_2)
	v_dual_add_f32 v142, v144, v70 :: v_dual_add_f32 v139, v143, v139
	v_fma_f32 v143, 0x3ee437d1, v53, -v145
	v_add_f32_e32 v142, v142, v15
	s_delay_alu instid0(VALU_DEP_2) | instskip(SKIP_1) | instid1(VALU_DEP_3)
	v_add_f32_e32 v139, v143, v139
	v_fma_f32 v143, 0x3f6eb680, v52, -v57
	v_add_f32_e32 v142, v142, v13
	s_delay_alu instid0(VALU_DEP_1) | instskip(NEXT) | instid1(VALU_DEP_3)
	v_dual_fmamk_f32 v52, v52, 0x3f6eb680, v57 :: v_dual_add_f32 v57, v142, v8
	v_add_f32_e32 v142, v4, v143
	v_fma_f32 v143, 0x3f3d2fb0, v23, -v60
	s_delay_alu instid0(VALU_DEP_3) | instskip(NEXT) | instid1(VALU_DEP_4)
	v_dual_add_f32 v4, v4, v52 :: v_dual_fmamk_f32 v23, v23, 0x3f3d2fb0, v60
	v_add_f32_e32 v52, v57, v1
	v_fma_f32 v60, 0x3ee437d1, v21, -v61
	s_delay_alu instid0(VALU_DEP_4) | instskip(NEXT) | instid1(VALU_DEP_4)
	v_add_f32_e32 v57, v143, v142
	v_dual_fmamk_f32 v21, v21, 0x3ee437d1, v61 :: v_dual_add_f32 v4, v23, v4
	v_fmamk_f32 v144, v53, 0x3ee437d1, v145
	v_add_f32_e32 v52, v52, v5
	s_delay_alu instid0(VALU_DEP_4) | instskip(SKIP_1) | instid1(VALU_DEP_4)
	v_add_f32_e32 v23, v60, v57
	v_fma_f32 v57, 0x3dbcf732, v22, -v55
	v_dual_add_f32 v4, v21, v4 :: v_dual_add_f32 v141, v144, v141
	s_delay_alu instid0(VALU_DEP_4) | instskip(NEXT) | instid1(VALU_DEP_3)
	v_dual_add_f32 v52, v52, v12 :: v_dual_fmamk_f32 v21, v22, 0x3dbcf732, v55
	v_dual_add_f32 v22, v57, v23 :: v_dual_mul_f32 v55, 0xbf4c4adb, v62
	s_delay_alu instid0(VALU_DEP_2) | instskip(SKIP_1) | instid1(VALU_DEP_4)
	v_dual_fmamk_f32 v144, v54, 0x3f6eb680, v146 :: v_dual_add_f32 v23, v52, v14
	v_fma_f32 v52, 0xbe8c1d8e, v50, -v56
	v_dual_add_f32 v4, v21, v4 :: v_dual_fmamk_f32 v21, v50, 0xbe8c1d8e, v56
	s_delay_alu instid0(VALU_DEP_4) | instskip(SKIP_1) | instid1(VALU_DEP_4)
	v_fma_f32 v50, 0xbf1a4643, v51, -v55
	v_fma_f32 v145, 0x3f6eb680, v54, -v146
	v_add_f32_e32 v22, v52, v22
	v_mul_f32_e32 v52, 0xbf06c442, v63
	v_add_f32_e32 v4, v21, v4
	s_delay_alu instid0(VALU_DEP_3) | instskip(NEXT) | instid1(VALU_DEP_3)
	v_add_f32_e32 v22, v50, v22
	v_fma_f32 v50, 0xbf59a7d5, v53, -v52
	s_delay_alu instid0(VALU_DEP_1) | instskip(NEXT) | instid1(VALU_DEP_1)
	v_dual_add_f32 v22, v50, v22 :: v_dual_add_f32 v23, v23, v16
	v_add_f32_e32 v21, v23, v17
	v_fmamk_f32 v23, v51, 0xbf1a4643, v55
	s_delay_alu instid0(VALU_DEP_1) | instskip(SKIP_2) | instid1(VALU_DEP_3)
	v_dual_mul_f32 v51, 0xbe3c28d5, v129 :: v_dual_add_f32 v4, v23, v4
	v_fmamk_f32 v23, v53, 0xbf59a7d5, v52
	v_add3_u32 v52, 0, v6, v121
	v_fma_f32 v50, 0xbf7ba420, v54, -v51
	s_delay_alu instid0(VALU_DEP_3) | instskip(SKIP_1) | instid1(VALU_DEP_4)
	v_dual_add_f32 v53, v144, v141 :: v_dual_add_f32 v4, v23, v4
	v_fmamk_f32 v23, v54, 0xbf7ba420, v51
	v_dual_add_f32 v21, v21, v10 :: v_dual_add_nc_u32 v54, 0x800, v52
	s_delay_alu instid0(VALU_DEP_4) | instskip(SKIP_1) | instid1(VALU_DEP_3)
	v_add_f32_e32 v22, v50, v22
	v_dual_add_f32 v51, v145, v139 :: v_dual_add_nc_u32 v50, 0x400, v52
	v_dual_add_f32 v4, v23, v4 :: v_dual_add_f32 v21, v21, v11
	s_delay_alu instid0(VALU_DEP_1)
	v_add_f32_e32 v21, v21, v18
	ds_store_2addr_b32 v50, v21, v22 offset0:220 offset1:227
	ds_store_2addr_b32 v50, v51, v140 offset0:234 offset1:241
	;; [unrolled: 1-line block ×8, first 2 shown]
	ds_store_b32 v52, v4 offset:2352
.LBB0_16:
	s_or_b32 exec_lo, exec_lo, s1
	v_dual_add_f32 v4, v102, v118 :: v_dual_sub_f32 v21, v119, v59
	v_sub_f32_e32 v50, v117, v128
	v_dual_add_f32 v22, v118, v126 :: v_dual_add_f32 v23, v115, v127
	s_delay_alu instid0(VALU_DEP_3) | instskip(SKIP_1) | instid1(VALU_DEP_4)
	v_dual_add_f32 v4, v4, v115 :: v_dual_mul_f32 v53, 0xbf65296c, v21
	v_mul_f32_e32 v51, 0xbeb8f4ab, v21
	v_dual_mul_f32 v52, 0xbf2c7751, v21 :: v_dual_mul_f32 v59, 0xbf2c7751, v50
	s_delay_alu instid0(VALU_DEP_3) | instskip(NEXT) | instid1(VALU_DEP_3)
	v_dual_add_f32 v4, v4, v110 :: v_dual_mul_f32 v55, 0xbf763a35, v21
	v_fmamk_f32 v64, v22, 0x3f6eb680, v51
	v_fma_f32 v51, 0x3f6eb680, v22, -v51
	v_mul_f32_e32 v54, 0xbf7ee86f, v21
	s_delay_alu instid0(VALU_DEP_4) | instskip(SKIP_2) | instid1(VALU_DEP_3)
	v_dual_add_f32 v4, v4, v105 :: v_dual_mul_f32 v63, 0x3f06c442, v50
	v_mul_f32_e32 v57, 0xbf06c442, v21
	v_dual_mul_f32 v56, 0xbf4c4adb, v21 :: v_dual_mul_f32 v61, 0xbf4c4adb, v50
	v_dual_add_f32 v4, v4, v107 :: v_dual_fmamk_f32 v65, v22, 0x3f3d2fb0, v52
	v_add_f32_e32 v51, v102, v51
	v_dual_mul_f32 v21, 0xbe3c28d5, v21 :: v_dual_mul_f32 v62, 0xbe3c28d5, v50
	s_delay_alu instid0(VALU_DEP_3) | instskip(NEXT) | instid1(VALU_DEP_4)
	v_dual_add_f32 v4, v4, v95 :: v_dual_fmamk_f32 v115, v22, 0x3ee437d1, v53
	v_dual_mul_f32 v60, 0xbf7ee86f, v50 :: v_dual_add_f32 v65, v102, v65
	v_fma_f32 v53, 0x3ee437d1, v22, -v53
	s_delay_alu instid0(VALU_DEP_3) | instskip(NEXT) | instid1(VALU_DEP_3)
	v_dual_add_f32 v4, v4, v91 :: v_dual_fmamk_f32 v117, v22, 0x3dbcf732, v54
	v_fmamk_f32 v130, v23, 0x3dbcf732, v60
	v_fmamk_f32 v131, v23, 0xbf1a4643, v61
	v_fma_f32 v61, 0xbf1a4643, v23, -v61
	s_delay_alu instid0(VALU_DEP_4) | instskip(SKIP_3) | instid1(VALU_DEP_4)
	v_dual_add_f32 v4, v4, v89 :: v_dual_fmamk_f32 v119, v22, 0xbf1a4643, v56
	v_add_f32_e32 v53, v102, v53
	v_fmamk_f32 v118, v22, 0xbe8c1d8e, v55
	v_fma_f32 v55, 0xbe8c1d8e, v22, -v55
	v_dual_add_f32 v4, v4, v84 :: v_dual_fmamk_f32 v129, v22, 0xbf7ba420, v21
	v_fma_f32 v52, 0x3f3d2fb0, v22, -v52
	v_fma_f32 v54, 0x3dbcf732, v22, -v54
	;; [unrolled: 1-line block ×3, first 2 shown]
	s_delay_alu instid0(VALU_DEP_4)
	v_add_f32_e32 v4, v4, v93
	v_fma_f32 v21, 0xbf7ba420, v22, -v21
	v_add_f32_e32 v53, v61, v53
	v_fma_f32 v60, 0x3dbcf732, v23, -v60
	v_add_f32_e32 v52, v102, v52
	v_dual_add_f32 v4, v4, v112 :: v_dual_add_f32 v117, v102, v117
	v_fma_f32 v61, 0xbf7ba420, v23, -v62
	v_add_f32_e32 v110, v110, v124
	v_add_f32_e32 v56, v102, v56
	s_delay_alu instid0(VALU_DEP_4)
	v_dual_add_f32 v4, v4, v114 :: v_dual_add_f32 v55, v102, v55
	v_add_f32_e32 v118, v102, v118
	v_fmamk_f32 v128, v22, 0xbf59a7d5, v57
	v_fma_f32 v57, 0xbf59a7d5, v22, -v57
	v_dual_fmamk_f32 v22, v23, 0x3f3d2fb0, v59 :: v_dual_add_f32 v115, v102, v115
	v_fma_f32 v59, 0x3f3d2fb0, v23, -v59
	v_dual_add_f32 v4, v4, v122 :: v_dual_add_f32 v119, v102, v119
	s_delay_alu instid0(VALU_DEP_4) | instskip(SKIP_1) | instid1(VALU_DEP_3)
	v_add_f32_e32 v57, v102, v57
	s_waitcnt lgkmcnt(0)
	v_dual_add_f32 v51, v59, v51 :: v_dual_add_f32 v64, v102, v64
	v_add_f32_e32 v59, v130, v65
	v_fmamk_f32 v65, v23, 0xbf59a7d5, v63
	v_dual_add_f32 v21, v102, v21 :: v_dual_add_f32 v52, v60, v52
	s_delay_alu instid0(VALU_DEP_4)
	v_add_f32_e32 v22, v22, v64
	v_fmamk_f32 v64, v23, 0xbf7ba420, v62
	v_mul_f32_e32 v62, 0x3f763a35, v50
	v_add_f32_e32 v54, v102, v54
	v_fma_f32 v63, 0xbf59a7d5, v23, -v63
	v_dual_add_f32 v4, v4, v124 :: v_dual_add_f32 v129, v102, v129
	v_add_f32_e32 v60, v131, v115
	s_delay_alu instid0(VALU_DEP_4) | instskip(SKIP_4) | instid1(VALU_DEP_4)
	v_dual_add_f32 v54, v61, v54 :: v_dual_fmamk_f32 v61, v23, 0xbe8c1d8e, v62
	v_fma_f32 v62, 0xbe8c1d8e, v23, -v62
	v_add_f32_e32 v55, v63, v55
	v_mul_f32_e32 v63, 0x3f65296c, v50
	v_mul_f32_e32 v50, 0x3eb8f4ab, v50
	v_dual_add_f32 v65, v65, v118 :: v_dual_add_f32 v56, v62, v56
	v_sub_f32_e32 v62, v111, v125
	v_dual_add_f32 v128, v102, v128 :: v_dual_add_f32 v61, v61, v119
	v_fmamk_f32 v102, v23, 0x3ee437d1, v63
	v_fma_f32 v63, 0x3ee437d1, v23, -v63
	v_fmamk_f32 v111, v23, 0x3f6eb680, v50
	v_mul_f32_e32 v115, 0xbf65296c, v62
	v_fma_f32 v23, 0x3f6eb680, v23, -v50
	v_add_f32_e32 v4, v4, v127
	v_add_f32_e32 v50, v63, v57
	;; [unrolled: 1-line block ×3, first 2 shown]
	v_fmamk_f32 v63, v110, 0x3ee437d1, v115
	v_add_f32_e32 v21, v23, v21
	v_fma_f32 v23, 0x3ee437d1, v110, -v115
	v_mul_f32_e32 v115, 0x3e3c28d5, v62
	v_add_f32_e32 v4, v4, v126
	v_mul_f32_e32 v111, 0xbf4c4adb, v62
	v_add_f32_e32 v22, v63, v22
	v_add_f32_e32 v23, v23, v51
	v_dual_fmamk_f32 v51, v110, 0xbf7ba420, v115 :: v_dual_add_f32 v64, v64, v117
	s_delay_alu instid0(VALU_DEP_4)
	v_fmamk_f32 v63, v110, 0xbf1a4643, v111
	v_fma_f32 v111, 0xbf1a4643, v110, -v111
	v_mul_f32_e32 v117, 0x3f763a35, v62
	s_barrier
	buffer_gl0_inv
	v_add_f32_e32 v59, v63, v59
	v_fma_f32 v63, 0xbf7ba420, v110, -v115
	v_add_f32_e32 v52, v111, v52
	v_fma_f32 v115, 0xbe8c1d8e, v110, -v117
	v_mul_f32_e32 v111, 0x3f2c7751, v62
	v_add_f32_e32 v51, v51, v60
	v_add_f32_e32 v53, v63, v53
	v_mul_f32_e32 v63, 0xbeb8f4ab, v62
	v_add_f32_e32 v54, v115, v54
	v_dual_fmamk_f32 v60, v110, 0xbe8c1d8e, v117 :: v_dual_add_f32 v95, v95, v112
	v_add_f32_e32 v107, v107, v114
	s_delay_alu instid0(VALU_DEP_4) | instskip(SKIP_1) | instid1(VALU_DEP_4)
	v_fmamk_f32 v115, v110, 0x3f6eb680, v63
	v_fma_f32 v63, 0x3f6eb680, v110, -v63
	v_add_f32_e32 v60, v60, v64
	v_fmamk_f32 v64, v110, 0x3f3d2fb0, v111
	v_fma_f32 v111, 0x3f3d2fb0, v110, -v111
	s_delay_alu instid0(VALU_DEP_4) | instskip(SKIP_2) | instid1(VALU_DEP_4)
	v_dual_mul_f32 v117, 0xbf7ee86f, v62 :: v_dual_add_f32 v56, v63, v56
	v_sub_f32_e32 v63, v106, v123
	v_add_f32_e32 v102, v102, v128
	v_dual_add_f32 v64, v64, v65 :: v_dual_add_f32 v55, v111, v55
	v_mul_f32_e32 v62, 0xbf06c442, v62
	v_fmamk_f32 v65, v110, 0x3dbcf732, v117
	v_add_f32_e32 v61, v115, v61
	v_fma_f32 v106, 0x3dbcf732, v110, -v117
	v_add_f32_e32 v105, v105, v122
	v_mul_f32_e32 v111, 0xbf7ee86f, v63
	v_dual_add_f32 v65, v65, v102 :: v_dual_fmamk_f32 v102, v110, 0xbf59a7d5, v62
	s_delay_alu instid0(VALU_DEP_4) | instskip(SKIP_2) | instid1(VALU_DEP_4)
	v_add_f32_e32 v50, v106, v50
	v_fma_f32 v62, 0xbf59a7d5, v110, -v62
	v_dual_add_f32 v91, v91, v93 :: v_dual_sub_f32 v92, v92, v94
	v_dual_add_f32 v57, v102, v57 :: v_dual_mul_f32 v102, 0xbe3c28d5, v63
	v_fmamk_f32 v106, v105, 0x3dbcf732, v111
	v_fma_f32 v110, 0x3dbcf732, v105, -v111
	v_dual_add_f32 v21, v62, v21 :: v_dual_mul_f32 v62, 0x3f763a35, v63
	s_delay_alu instid0(VALU_DEP_3) | instskip(NEXT) | instid1(VALU_DEP_3)
	v_dual_fmamk_f32 v111, v105, 0xbf7ba420, v102 :: v_dual_add_f32 v22, v106, v22
	v_add_f32_e32 v23, v110, v23
	v_fma_f32 v102, 0xbf7ba420, v105, -v102
	s_delay_alu instid0(VALU_DEP_4) | instskip(SKIP_2) | instid1(VALU_DEP_4)
	v_fmamk_f32 v106, v105, 0xbe8c1d8e, v62
	v_fma_f32 v62, 0xbe8c1d8e, v105, -v62
	v_mul_f32_e32 v110, 0x3eb8f4ab, v63
	v_dual_add_f32 v59, v111, v59 :: v_dual_add_f32 v52, v102, v52
	v_mul_f32_e32 v93, 0xbf06c442, v92
	s_delay_alu instid0(VALU_DEP_4) | instskip(NEXT) | instid1(VALU_DEP_4)
	v_add_f32_e32 v53, v62, v53
	v_dual_add_f32 v51, v106, v51 :: v_dual_fmamk_f32 v106, v105, 0x3f6eb680, v110
	v_fma_f32 v62, 0x3f6eb680, v105, -v110
	v_mul_f32_e32 v110, 0xbf06c442, v63
	v_dual_sub_f32 v83, v90, v83 :: v_dual_sub_f32 v48, v103, v48
	s_delay_alu instid0(VALU_DEP_4) | instskip(NEXT) | instid1(VALU_DEP_4)
	v_add_f32_e32 v60, v106, v60
	v_add_f32_e32 v54, v62, v54
	s_delay_alu instid0(VALU_DEP_4)
	v_fmamk_f32 v62, v105, 0xbf59a7d5, v110
	v_mul_f32_e32 v102, 0xbf65296c, v63
	v_sub_f32_e32 v58, v99, v58
	v_sub_f32_e32 v36, v97, v36
	;; [unrolled: 1-line block ×3, first 2 shown]
	v_add_f32_e32 v61, v62, v61
	v_fmamk_f32 v111, v105, 0x3ee437d1, v102
	v_fma_f32 v102, 0x3ee437d1, v105, -v102
	v_mul_f32_e32 v62, 0x3f2c7751, v63
	v_sub_f32_e32 v32, v88, v32
	v_dual_sub_f32 v34, v46, v34 :: v_dual_sub_f32 v31, v44, v31
	s_delay_alu instid0(VALU_DEP_4) | instskip(SKIP_4) | instid1(VALU_DEP_4)
	v_add_f32_e32 v55, v102, v55
	v_dual_mul_f32 v102, 0x3f4c4adb, v63 :: v_dual_sub_f32 v63, v108, v116
	v_fma_f32 v106, 0xbf59a7d5, v105, -v110
	v_fmamk_f32 v108, v105, 0x3f3d2fb0, v62
	v_fma_f32 v62, 0x3f3d2fb0, v105, -v62
	v_dual_sub_f32 v29, v40, v29 :: v_dual_mul_f32 v110, 0xbf763a35, v63
	s_delay_alu instid0(VALU_DEP_4) | instskip(NEXT) | instid1(VALU_DEP_3)
	v_add_f32_e32 v56, v106, v56
	v_dual_fmamk_f32 v106, v105, 0xbf1a4643, v102 :: v_dual_add_f32 v21, v62, v21
	v_add_f32_e32 v64, v111, v64
	v_fma_f32 v102, 0xbf1a4643, v105, -v102
	v_mul_f32_e32 v105, 0x3f06c442, v63
	s_delay_alu instid0(VALU_DEP_4) | instskip(SKIP_3) | instid1(VALU_DEP_3)
	v_add_f32_e32 v65, v106, v65
	v_fma_f32 v106, 0xbe8c1d8e, v107, -v110
	v_mul_f32_e32 v62, 0x3f2c7751, v63
	v_add_f32_e32 v50, v102, v50
	v_add_f32_e32 v23, v106, v23
	s_delay_alu instid0(VALU_DEP_3) | instskip(SKIP_2) | instid1(VALU_DEP_3)
	v_dual_add_f32 v57, v108, v57 :: v_dual_fmamk_f32 v106, v107, 0x3f3d2fb0, v62
	v_mul_f32_e32 v108, 0xbf65296c, v63
	v_fma_f32 v62, 0x3f3d2fb0, v107, -v62
	v_add_f32_e32 v51, v106, v51
	s_delay_alu instid0(VALU_DEP_2) | instskip(NEXT) | instid1(VALU_DEP_4)
	v_dual_add_f32 v53, v62, v53 :: v_dual_fmamk_f32 v102, v107, 0xbe8c1d8e, v110
	v_fma_f32 v62, 0x3ee437d1, v107, -v108
	v_mul_f32_e32 v106, 0x3f7ee86f, v63
	s_delay_alu instid0(VALU_DEP_3) | instskip(NEXT) | instid1(VALU_DEP_3)
	v_add_f32_e32 v22, v102, v22
	v_add_f32_e32 v54, v62, v54
	s_delay_alu instid0(VALU_DEP_3) | instskip(SKIP_3) | instid1(VALU_DEP_4)
	v_fmamk_f32 v62, v107, 0x3dbcf732, v106
	v_fmamk_f32 v102, v107, 0xbf59a7d5, v105
	v_fma_f32 v105, 0xbf59a7d5, v107, -v105
	v_fma_f32 v106, 0x3dbcf732, v107, -v106
	v_add_f32_e32 v61, v62, v61
	s_delay_alu instid0(VALU_DEP_3) | instskip(SKIP_3) | instid1(VALU_DEP_3)
	v_dual_add_f32 v59, v102, v59 :: v_dual_add_f32 v52, v105, v52
	v_fmamk_f32 v102, v107, 0x3ee437d1, v108
	v_dual_mul_f32 v105, 0xbe3c28d5, v63 :: v_dual_sub_f32 v62, v109, v113
	v_add_f32_e32 v56, v106, v56
	v_add_f32_e32 v60, v102, v60
	s_delay_alu instid0(VALU_DEP_3) | instskip(SKIP_2) | instid1(VALU_DEP_3)
	v_fmamk_f32 v102, v107, 0xbf7ba420, v105
	v_fma_f32 v105, 0xbf7ba420, v107, -v105
	v_mul_f32_e32 v106, 0xbf4c4adb, v62
	v_add_f32_e32 v64, v102, v64
	v_mul_f32_e32 v102, 0xbeb8f4ab, v63
	v_mul_f32_e32 v63, 0xbf4c4adb, v63
	v_add_f32_e32 v55, v105, v55
	s_delay_alu instid0(VALU_DEP_3) | instskip(SKIP_1) | instid1(VALU_DEP_4)
	v_fmamk_f32 v105, v107, 0x3f6eb680, v102
	v_fma_f32 v102, 0x3f6eb680, v107, -v102
	v_fmamk_f32 v108, v107, 0xbf1a4643, v63
	v_fma_f32 v63, 0xbf1a4643, v107, -v63
	s_delay_alu instid0(VALU_DEP_3) | instskip(NEXT) | instid1(VALU_DEP_3)
	v_dual_add_f32 v65, v105, v65 :: v_dual_add_f32 v50, v102, v50
	v_add_f32_e32 v57, v108, v57
	s_delay_alu instid0(VALU_DEP_3) | instskip(SKIP_1) | instid1(VALU_DEP_1)
	v_add_f32_e32 v21, v63, v21
	v_fmamk_f32 v102, v95, 0xbf1a4643, v106
	v_add_f32_e32 v22, v102, v22
	v_mul_f32_e32 v102, 0xbeb8f4ab, v62
	s_delay_alu instid0(VALU_DEP_1) | instskip(SKIP_2) | instid1(VALU_DEP_3)
	v_fmamk_f32 v107, v95, 0x3f6eb680, v102
	v_mul_f32_e32 v105, 0x3f763a35, v62
	v_fma_f32 v102, 0x3f6eb680, v95, -v102
	v_add_f32_e32 v51, v107, v51
	v_fma_f32 v63, 0xbf1a4643, v95, -v106
	s_delay_alu instid0(VALU_DEP_3) | instskip(NEXT) | instid1(VALU_DEP_2)
	v_add_f32_e32 v53, v102, v53
	v_add_f32_e32 v23, v63, v23
	v_fmamk_f32 v106, v95, 0xbe8c1d8e, v105
	v_fma_f32 v105, 0xbe8c1d8e, v95, -v105
	v_mul_f32_e32 v63, 0xbf06c442, v62
	s_delay_alu instid0(VALU_DEP_3) | instskip(SKIP_1) | instid1(VALU_DEP_3)
	v_dual_add_f32 v59, v106, v59 :: v_dual_mul_f32 v106, 0x3f7ee86f, v62
	v_mul_f32_e32 v102, 0xbf2c7751, v62
	v_dual_add_f32 v52, v105, v52 :: v_dual_fmamk_f32 v105, v95, 0xbf59a7d5, v63
	v_fma_f32 v63, 0xbf59a7d5, v95, -v63
	s_delay_alu instid0(VALU_DEP_3) | instskip(SKIP_1) | instid1(VALU_DEP_4)
	v_fmamk_f32 v107, v95, 0x3f3d2fb0, v102
	v_fma_f32 v102, 0x3f3d2fb0, v95, -v102
	v_add_f32_e32 v60, v105, v60
	s_delay_alu instid0(VALU_DEP_4) | instskip(SKIP_4) | instid1(VALU_DEP_4)
	v_add_f32_e32 v54, v63, v54
	v_fmamk_f32 v63, v95, 0x3dbcf732, v106
	v_fma_f32 v105, 0x3dbcf732, v95, -v106
	v_mul_f32_e32 v106, 0xbe3c28d5, v62
	v_dual_mul_f32 v62, 0x3f65296c, v62 :: v_dual_add_f32 v61, v107, v61
	v_add_f32_e32 v63, v63, v64
	s_delay_alu instid0(VALU_DEP_3) | instskip(NEXT) | instid1(VALU_DEP_1)
	v_dual_add_f32 v55, v105, v55 :: v_dual_fmamk_f32 v64, v95, 0xbf7ba420, v106
	v_add_f32_e32 v64, v64, v65
	v_fma_f32 v65, 0xbf7ba420, v95, -v106
	s_delay_alu instid0(VALU_DEP_1) | instskip(SKIP_3) | instid1(VALU_DEP_3)
	v_dual_add_f32 v50, v65, v50 :: v_dual_mul_f32 v65, 0x3f65296c, v92
	v_fmamk_f32 v94, v95, 0x3ee437d1, v62
	v_fma_f32 v62, 0x3ee437d1, v95, -v62
	v_dual_add_f32 v56, v102, v56 :: v_dual_fmamk_f32 v95, v91, 0xbf59a7d5, v93
	v_add_f32_e32 v57, v94, v57
	s_delay_alu instid0(VALU_DEP_3) | instskip(SKIP_4) | instid1(VALU_DEP_4)
	v_add_f32_e32 v21, v62, v21
	v_fma_f32 v62, 0xbf59a7d5, v91, -v93
	v_fmamk_f32 v93, v91, 0x3ee437d1, v65
	v_mul_f32_e32 v94, 0xbf7ee86f, v92
	v_fma_f32 v65, 0x3ee437d1, v91, -v65
	v_add_f32_e32 v23, v62, v23
	s_delay_alu instid0(VALU_DEP_4) | instskip(NEXT) | instid1(VALU_DEP_3)
	v_add_f32_e32 v59, v93, v59
	v_dual_fmamk_f32 v93, v91, 0x3dbcf732, v94 :: v_dual_add_f32 v52, v65, v52
	v_mul_f32_e32 v65, 0xbeb8f4ab, v92
	v_mul_f32_e32 v62, 0x3f4c4adb, v92
	s_delay_alu instid0(VALU_DEP_3) | instskip(NEXT) | instid1(VALU_DEP_3)
	v_dual_add_f32 v22, v95, v22 :: v_dual_add_f32 v51, v93, v51
	v_fmamk_f32 v93, v91, 0x3f6eb680, v65
	v_fma_f32 v65, 0x3f6eb680, v91, -v65
	s_delay_alu instid0(VALU_DEP_4) | instskip(SKIP_1) | instid1(VALU_DEP_3)
	v_fmamk_f32 v95, v91, 0xbf1a4643, v62
	v_fma_f32 v62, 0xbf1a4643, v91, -v62
	v_add_f32_e32 v105, v65, v55
	v_fma_f32 v94, 0x3dbcf732, v91, -v94
	s_delay_alu instid0(VALU_DEP_4) | instskip(SKIP_2) | instid1(VALU_DEP_4)
	v_add_f32_e32 v60, v95, v60
	v_add_f32_e32 v95, v2, v100
	v_mul_f32_e32 v65, 0xbe3c28d5, v83
	v_dual_add_f32 v53, v94, v53 :: v_dual_mul_f32 v94, 0xbe3c28d5, v92
	s_delay_alu instid0(VALU_DEP_3) | instskip(SKIP_2) | instid1(VALU_DEP_4)
	v_add_f32_e32 v55, v95, v98
	v_add_f32_e32 v54, v62, v54
	v_dual_add_f32 v62, v93, v63 :: v_dual_mul_f32 v63, 0x3f2c7751, v92
	v_fmamk_f32 v93, v91, 0xbf7ba420, v94
	s_delay_alu instid0(VALU_DEP_4) | instskip(SKIP_1) | instid1(VALU_DEP_4)
	v_add_f32_e32 v55, v55, v96
	v_fma_f32 v94, 0xbf7ba420, v91, -v94
	v_dual_add_f32 v95, v89, v84 :: v_dual_fmamk_f32 v102, v91, 0x3f3d2fb0, v63
	v_fma_f32 v63, 0x3f3d2fb0, v91, -v63
	s_delay_alu instid0(VALU_DEP_3) | instskip(SKIP_1) | instid1(VALU_DEP_4)
	v_dual_add_f32 v55, v55, v85 :: v_dual_add_f32 v94, v94, v56
	v_mul_f32_e32 v56, 0xbf763a35, v92
	v_add_f32_e32 v64, v102, v64
	s_delay_alu instid0(VALU_DEP_4) | instskip(NEXT) | instid1(VALU_DEP_3)
	v_dual_add_f32 v50, v63, v50 :: v_dual_add_f32 v61, v93, v61
	v_fmamk_f32 v84, v91, 0xbe8c1d8e, v56
	s_delay_alu instid0(VALU_DEP_1) | instskip(SKIP_1) | instid1(VALU_DEP_1)
	v_add_f32_e32 v57, v84, v57
	v_fma_f32 v56, 0xbe8c1d8e, v91, -v56
	v_dual_fmamk_f32 v63, v95, 0xbf7ba420, v65 :: v_dual_add_f32 v102, v56, v21
	s_delay_alu instid0(VALU_DEP_1) | instskip(SKIP_2) | instid1(VALU_DEP_3)
	v_dual_mul_f32 v21, 0x3eb8f4ab, v83 :: v_dual_add_f32 v22, v63, v22
	v_mul_f32_e32 v63, 0xbf06c442, v83
	v_fma_f32 v56, 0xbf7ba420, v95, -v65
	v_fma_f32 v84, 0x3f6eb680, v95, -v21
	s_delay_alu instid0(VALU_DEP_3) | instskip(SKIP_1) | instid1(VALU_DEP_4)
	v_fmamk_f32 v89, v95, 0xbf59a7d5, v63
	v_fmamk_f32 v65, v95, 0x3f6eb680, v21
	v_add_f32_e32 v21, v56, v23
	s_delay_alu instid0(VALU_DEP_4) | instskip(NEXT) | instid1(VALU_DEP_1)
	v_dual_add_f32 v23, v84, v52 :: v_dual_mul_f32 v52, 0x3f2c7751, v83
	v_fmamk_f32 v84, v95, 0x3f3d2fb0, v52
	v_fma_f32 v52, 0x3f3d2fb0, v95, -v52
	v_add_f32_e32 v55, v55, v87
	s_delay_alu instid0(VALU_DEP_1) | instskip(NEXT) | instid1(VALU_DEP_1)
	v_add_f32_e32 v55, v55, v47
	v_add_f32_e32 v56, v55, v43
	;; [unrolled: 1-line block ×3, first 2 shown]
	s_delay_alu instid0(VALU_DEP_2)
	v_dual_add_f32 v59, v56, v42 :: v_dual_add_f32 v56, v89, v51
	v_fma_f32 v51, 0xbf59a7d5, v95, -v63
	v_mul_f32_e32 v63, 0xbf4c4adb, v83
	v_add_f32_e32 v89, v84, v60
	v_add_f32_e32 v84, v52, v54
	v_mul_f32_e32 v52, 0x3f65296c, v83
	v_dual_add_f32 v59, v59, v35 :: v_dual_mul_f32 v60, 0xbeb8f4ab, v48
	v_dual_add_f32 v65, v51, v53 :: v_dual_mul_f32 v54, 0xbf763a35, v83
	v_fmamk_f32 v51, v95, 0xbf1a4643, v63
	s_delay_alu instid0(VALU_DEP_3)
	v_add_f32_e32 v53, v59, v37
	v_fmamk_f32 v59, v95, 0x3ee437d1, v52
	v_fma_f32 v52, 0x3ee437d1, v95, -v52
	v_add_f32_e32 v37, v43, v37
	v_add_f32_e32 v90, v51, v62
	v_fma_f32 v51, 0xbf1a4643, v95, -v63
	v_mul_f32_e32 v62, 0xbf4c4adb, v48
	v_add_f32_e32 v92, v52, v94
	v_dual_mul_f32 v52, 0x3f7ee86f, v83 :: v_dual_add_f32 v53, v53, v33
	s_delay_alu instid0(VALU_DEP_4)
	v_add_f32_e32 v91, v51, v105
	v_add_f32_e32 v33, v47, v33
	v_mul_f32_e32 v47, 0xbf4c4adb, v34
	v_mul_f32_e32 v43, 0xbf06c442, v31
	v_add_f32_e32 v51, v53, v39
	v_fmamk_f32 v53, v95, 0xbe8c1d8e, v54
	v_add_f32_e32 v39, v87, v39
	s_delay_alu instid0(VALU_DEP_2)
	v_dual_add_f32 v35, v42, v35 :: v_dual_add_f32 v94, v53, v64
	v_fma_f32 v53, 0xbe8c1d8e, v95, -v54
	v_fmamk_f32 v54, v95, 0x3dbcf732, v52
	v_add_f32_e32 v51, v51, v41
	v_fma_f32 v52, 0x3dbcf732, v95, -v52
	v_add_f32_e32 v41, v85, v41
	s_delay_alu instid0(VALU_DEP_2) | instskip(SKIP_3) | instid1(VALU_DEP_4)
	v_dual_add_f32 v51, v51, v45 :: v_dual_add_f32 v102, v52, v102
	v_add_f32_e32 v93, v59, v61
	v_add_f32_e32 v59, v100, v49
	;; [unrolled: 1-line block ×4, first 2 shown]
	v_dual_add_f32 v100, v54, v57 :: v_dual_mul_f32 v57, 0xbf7ee86f, v48
	s_delay_alu instid0(VALU_DEP_4) | instskip(NEXT) | instid1(VALU_DEP_3)
	v_fmamk_f32 v51, v59, 0x3f6eb680, v60
	v_dual_mul_f32 v52, 0xbf2c7751, v48 :: v_dual_add_f32 v103, v50, v49
	v_fma_f32 v49, 0x3f6eb680, v59, -v60
	s_delay_alu instid0(VALU_DEP_4)
	v_fmamk_f32 v60, v59, 0x3dbcf732, v57
	v_mul_f32_e32 v50, 0xbf65296c, v48
	v_fmamk_f32 v64, v59, 0xbf1a4643, v62
	v_fmamk_f32 v53, v59, 0x3f3d2fb0, v52
	v_add_f32_e32 v49, v2, v49
	v_add_f32_e32 v60, v2, v60
	v_dual_add_f32 v51, v2, v51 :: v_dual_fmamk_f32 v54, v59, 0x3ee437d1, v50
	v_fma_f32 v52, 0x3f3d2fb0, v59, -v52
	v_mul_f32_e32 v61, 0xbf763a35, v48
	v_fma_f32 v62, 0xbf1a4643, v59, -v62
	v_add_f32_e32 v64, v2, v64
	v_dual_add_f32 v54, v2, v54 :: v_dual_mul_f32 v83, 0xbf06c442, v48
	v_dual_add_f32 v53, v2, v53 :: v_dual_mul_f32 v48, 0xbe3c28d5, v48
	v_add_f32_e32 v52, v2, v52
	s_delay_alu instid0(VALU_DEP_3) | instskip(SKIP_3) | instid1(VALU_DEP_4)
	v_dual_add_f32 v62, v2, v62 :: v_dual_fmamk_f32 v105, v59, 0xbf59a7d5, v83
	v_fma_f32 v57, 0x3dbcf732, v59, -v57
	v_fma_f32 v50, 0x3ee437d1, v59, -v50
	v_dual_fmamk_f32 v63, v59, 0xbe8c1d8e, v61 :: v_dual_add_f32 v38, v98, v38
	v_add_f32_e32 v99, v2, v105
	v_fmamk_f32 v105, v59, 0xbf7ba420, v48
	v_dual_add_f32 v57, v2, v57 :: v_dual_mul_f32 v98, 0xbf2c7751, v58
	v_fma_f32 v61, 0xbe8c1d8e, v59, -v61
	v_fma_f32 v83, 0xbf59a7d5, v59, -v83
	;; [unrolled: 1-line block ×3, first 2 shown]
	v_add_f32_e32 v59, v2, v105
	v_mul_f32_e32 v105, 0xbf7ee86f, v58
	v_add_f32_e32 v50, v2, v50
	v_add_f32_e32 v63, v2, v63
	;; [unrolled: 1-line block ×4, first 2 shown]
	v_fmamk_f32 v107, v38, 0x3dbcf732, v105
	v_fmamk_f32 v106, v38, 0x3f3d2fb0, v98
	v_fma_f32 v98, 0x3f3d2fb0, v38, -v98
	v_add_f32_e32 v2, v2, v48
	s_delay_alu instid0(VALU_DEP_4) | instskip(NEXT) | instid1(VALU_DEP_4)
	v_dual_mul_f32 v48, 0xbf4c4adb, v58 :: v_dual_add_f32 v53, v107, v53
	v_add_f32_e32 v51, v106, v51
	s_delay_alu instid0(VALU_DEP_4) | instskip(SKIP_1) | instid1(VALU_DEP_4)
	v_add_f32_e32 v49, v98, v49
	v_fma_f32 v98, 0x3dbcf732, v38, -v105
	v_fmamk_f32 v105, v38, 0xbf1a4643, v48
	v_mul_f32_e32 v106, 0xbe3c28d5, v58
	v_fma_f32 v48, 0xbf1a4643, v38, -v48
	s_delay_alu instid0(VALU_DEP_4) | instskip(SKIP_1) | instid1(VALU_DEP_4)
	v_add_f32_e32 v52, v98, v52
	v_mul_f32_e32 v98, 0x3f06c442, v58
	v_dual_add_f32 v54, v105, v54 :: v_dual_fmamk_f32 v105, v38, 0xbf7ba420, v106
	s_delay_alu instid0(VALU_DEP_4) | instskip(SKIP_1) | instid1(VALU_DEP_4)
	v_add_f32_e32 v48, v48, v50
	v_fma_f32 v50, 0xbf7ba420, v38, -v106
	v_fmamk_f32 v107, v38, 0xbf59a7d5, v98
	v_fma_f32 v98, 0xbf59a7d5, v38, -v98
	v_mul_f32_e32 v106, 0x3f763a35, v58
	s_delay_alu instid0(VALU_DEP_4) | instskip(NEXT) | instid1(VALU_DEP_3)
	v_add_f32_e32 v50, v50, v57
	v_dual_add_f32 v61, v98, v61 :: v_dual_mul_f32 v98, 0x3f65296c, v58
	v_mul_f32_e32 v58, 0x3eb8f4ab, v58
	s_delay_alu instid0(VALU_DEP_2) | instskip(SKIP_1) | instid1(VALU_DEP_1)
	v_fma_f32 v97, 0x3ee437d1, v38, -v98
	v_fmamk_f32 v57, v38, 0xbe8c1d8e, v106
	v_dual_add_f32 v57, v57, v64 :: v_dual_fmamk_f32 v64, v38, 0x3ee437d1, v98
	s_delay_alu instid0(VALU_DEP_4) | instskip(NEXT) | instid1(VALU_DEP_2)
	v_fmamk_f32 v98, v38, 0x3f6eb680, v58
	v_add_f32_e32 v64, v64, v99
	v_add_f32_e32 v60, v105, v60
	v_fma_f32 v105, 0xbe8c1d8e, v38, -v106
	v_fma_f32 v38, 0x3f6eb680, v38, -v58
	v_dual_add_f32 v45, v96, v45 :: v_dual_mul_f32 v96, 0xbf65296c, v36
	v_add_f32_e32 v58, v97, v83
	s_delay_alu instid0(VALU_DEP_4) | instskip(NEXT) | instid1(VALU_DEP_4)
	v_add_f32_e32 v62, v105, v62
	v_dual_add_f32 v2, v38, v2 :: v_dual_add_f32 v63, v107, v63
	v_add_f32_e32 v59, v98, v59
	v_fma_f32 v38, 0x3ee437d1, v45, -v96
	v_fmamk_f32 v83, v45, 0x3ee437d1, v96
	v_mul_f32_e32 v96, 0x3e3c28d5, v36
	v_mul_f32_e32 v97, 0xbf4c4adb, v36
	;; [unrolled: 1-line block ×3, first 2 shown]
	s_delay_alu instid0(VALU_DEP_4) | instskip(NEXT) | instid1(VALU_DEP_4)
	v_dual_add_f32 v38, v38, v49 :: v_dual_add_f32 v51, v83, v51
	v_fmamk_f32 v49, v45, 0xbf7ba420, v96
	s_delay_alu instid0(VALU_DEP_1) | instskip(NEXT) | instid1(VALU_DEP_4)
	v_add_f32_e32 v49, v49, v54
	v_fmamk_f32 v54, v45, 0xbe8c1d8e, v98
	s_delay_alu instid0(VALU_DEP_1) | instskip(NEXT) | instid1(VALU_DEP_1)
	v_dual_fmamk_f32 v83, v45, 0xbf1a4643, v97 :: v_dual_add_f32 v54, v54, v60
	v_add_f32_e32 v53, v83, v53
	v_fma_f32 v83, 0xbf7ba420, v45, -v96
	v_mul_f32_e32 v96, 0x3f2c7751, v36
	s_delay_alu instid0(VALU_DEP_2) | instskip(NEXT) | instid1(VALU_DEP_2)
	v_add_f32_e32 v48, v83, v48
	v_fmamk_f32 v60, v45, 0x3f3d2fb0, v96
	v_fma_f32 v96, 0x3f3d2fb0, v45, -v96
	s_delay_alu instid0(VALU_DEP_2) | instskip(SKIP_1) | instid1(VALU_DEP_1)
	v_add_f32_e32 v60, v60, v63
	v_fma_f32 v97, 0xbf1a4643, v45, -v97
	v_dual_add_f32 v61, v96, v61 :: v_dual_add_f32 v52, v97, v52
	v_fma_f32 v97, 0xbe8c1d8e, v45, -v98
	v_mul_f32_e32 v83, 0xbeb8f4ab, v36
	v_mul_f32_e32 v85, 0xbf7ee86f, v30
	s_delay_alu instid0(VALU_DEP_3) | instskip(NEXT) | instid1(VALU_DEP_3)
	v_add_f32_e32 v50, v97, v50
	v_fma_f32 v63, 0x3f6eb680, v45, -v83
	s_delay_alu instid0(VALU_DEP_1) | instskip(NEXT) | instid1(VALU_DEP_1)
	v_dual_fmamk_f32 v97, v45, 0x3f6eb680, v83 :: v_dual_add_f32 v62, v63, v62
	v_dual_mul_f32 v98, 0xbf7ee86f, v36 :: v_dual_add_f32 v57, v97, v57
	v_mul_f32_e32 v36, 0xbf06c442, v36
	s_delay_alu instid0(VALU_DEP_2) | instskip(SKIP_1) | instid1(VALU_DEP_2)
	v_fmamk_f32 v83, v45, 0x3dbcf732, v98
	v_fma_f32 v63, 0x3dbcf732, v45, -v98
	v_dual_add_f32 v64, v83, v64 :: v_dual_fmamk_f32 v83, v45, 0xbf59a7d5, v36
	v_fma_f32 v36, 0xbf59a7d5, v45, -v36
	s_delay_alu instid0(VALU_DEP_3) | instskip(NEXT) | instid1(VALU_DEP_3)
	v_dual_add_f32 v58, v63, v58 :: v_dual_fmamk_f32 v63, v41, 0x3dbcf732, v85
	v_add_f32_e32 v45, v83, v59
	v_fma_f32 v83, 0x3dbcf732, v41, -v85
	s_delay_alu instid0(VALU_DEP_4) | instskip(NEXT) | instid1(VALU_DEP_4)
	v_add_f32_e32 v2, v36, v2
	v_dual_mul_f32 v36, 0x3f763a35, v30 :: v_dual_add_f32 v51, v63, v51
	s_delay_alu instid0(VALU_DEP_3) | instskip(SKIP_1) | instid1(VALU_DEP_3)
	v_add_f32_e32 v38, v83, v38
	v_mul_f32_e32 v83, 0x3eb8f4ab, v30
	v_fmamk_f32 v63, v41, 0xbe8c1d8e, v36
	v_fma_f32 v36, 0xbe8c1d8e, v41, -v36
	v_mul_f32_e32 v59, 0xbe3c28d5, v30
	s_delay_alu instid0(VALU_DEP_2) | instskip(NEXT) | instid1(VALU_DEP_2)
	v_dual_add_f32 v49, v63, v49 :: v_dual_add_f32 v36, v36, v48
	v_fmamk_f32 v85, v41, 0xbf7ba420, v59
	v_fma_f32 v59, 0xbf7ba420, v41, -v59
	v_fmamk_f32 v63, v41, 0x3f6eb680, v83
	s_delay_alu instid0(VALU_DEP_2) | instskip(NEXT) | instid1(VALU_DEP_2)
	v_dual_add_f32 v53, v85, v53 :: v_dual_add_f32 v52, v59, v52
	v_add_f32_e32 v54, v63, v54
	v_mul_f32_e32 v59, 0xbf65296c, v30
	s_delay_alu instid0(VALU_DEP_1) | instskip(NEXT) | instid1(VALU_DEP_1)
	v_fmamk_f32 v85, v41, 0x3ee437d1, v59
	v_add_f32_e32 v60, v85, v60
	v_fma_f32 v48, 0x3f6eb680, v41, -v83
	v_mul_f32_e32 v83, 0xbf06c442, v30
	s_delay_alu instid0(VALU_DEP_2) | instskip(NEXT) | instid1(VALU_DEP_2)
	v_add_f32_e32 v48, v48, v50
	v_fmamk_f32 v50, v41, 0xbf59a7d5, v83
	v_fma_f32 v63, 0xbf59a7d5, v41, -v83
	s_delay_alu instid0(VALU_DEP_2) | instskip(SKIP_2) | instid1(VALU_DEP_2)
	v_add_f32_e32 v50, v50, v57
	v_fma_f32 v59, 0x3ee437d1, v41, -v59
	v_mul_f32_e32 v83, 0xbf763a35, v32
	v_add_f32_e32 v59, v59, v61
	v_mul_f32_e32 v61, 0x3f4c4adb, v30
	v_mul_f32_e32 v30, 0x3f2c7751, v30
	v_add_f32_e32 v57, v63, v62
	s_delay_alu instid0(VALU_DEP_2) | instskip(SKIP_1) | instid1(VALU_DEP_1)
	v_fmamk_f32 v63, v41, 0x3f3d2fb0, v30
	v_fma_f32 v30, 0x3f3d2fb0, v41, -v30
	v_add_f32_e32 v2, v30, v2
	v_fma_f32 v30, 0xbe8c1d8e, v39, -v83
	s_delay_alu instid0(VALU_DEP_1) | instskip(SKIP_1) | instid1(VALU_DEP_1)
	v_dual_add_f32 v30, v30, v38 :: v_dual_add_f32 v45, v63, v45
	v_mul_f32_e32 v63, 0x3f2c7751, v32
	v_fmamk_f32 v38, v39, 0x3f3d2fb0, v63
	s_delay_alu instid0(VALU_DEP_1) | instskip(SKIP_2) | instid1(VALU_DEP_1)
	v_add_f32_e32 v38, v38, v49
	v_fmamk_f32 v62, v41, 0xbf1a4643, v61
	v_fma_f32 v61, 0xbf1a4643, v41, -v61
	v_dual_add_f32 v62, v62, v64 :: v_dual_add_f32 v41, v61, v58
	v_fmamk_f32 v58, v39, 0xbe8c1d8e, v83
	v_mul_f32_e32 v61, 0x3f06c442, v32
	s_delay_alu instid0(VALU_DEP_2) | instskip(NEXT) | instid1(VALU_DEP_2)
	v_dual_mul_f32 v64, 0xbf65296c, v32 :: v_dual_add_f32 v51, v58, v51
	v_fmamk_f32 v58, v39, 0xbf59a7d5, v61
	v_fma_f32 v61, 0xbf59a7d5, v39, -v61
	s_delay_alu instid0(VALU_DEP_3) | instskip(NEXT) | instid1(VALU_DEP_3)
	v_fmamk_f32 v49, v39, 0x3ee437d1, v64
	v_add_f32_e32 v53, v58, v53
	v_fma_f32 v58, 0x3f3d2fb0, v39, -v63
	s_delay_alu instid0(VALU_DEP_4) | instskip(SKIP_2) | instid1(VALU_DEP_4)
	v_add_f32_e32 v52, v61, v52
	v_mul_f32_e32 v61, 0xbe3c28d5, v32
	v_fma_f32 v63, 0x3ee437d1, v39, -v64
	v_dual_add_f32 v49, v49, v54 :: v_dual_add_f32 v36, v58, v36
	v_mul_f32_e32 v58, 0x3f7ee86f, v32
	v_mul_f32_e32 v64, 0xbeb8f4ab, v32
	s_delay_alu instid0(VALU_DEP_4) | instskip(SKIP_1) | instid1(VALU_DEP_4)
	v_add_f32_e32 v48, v63, v48
	v_mul_f32_e32 v32, 0xbf4c4adb, v32
	v_fmamk_f32 v63, v39, 0x3dbcf732, v58
	v_fma_f32 v58, 0x3dbcf732, v39, -v58
	v_fmamk_f32 v54, v39, 0xbf7ba420, v61
	v_fma_f32 v46, 0x3f6eb680, v39, -v64
	s_delay_alu instid0(VALU_DEP_3) | instskip(NEXT) | instid1(VALU_DEP_3)
	v_add_f32_e32 v57, v58, v57
	v_add_f32_e32 v54, v54, v60
	s_delay_alu instid0(VALU_DEP_3) | instskip(SKIP_3) | instid1(VALU_DEP_4)
	v_dual_fmamk_f32 v60, v39, 0x3f6eb680, v64 :: v_dual_add_f32 v41, v46, v41
	v_fmamk_f32 v46, v33, 0xbf1a4643, v47
	v_fma_f32 v47, 0xbf1a4643, v33, -v47
	v_add_f32_e32 v50, v63, v50
	v_add_f32_e32 v58, v60, v62
	v_fmamk_f32 v60, v39, 0xbf1a4643, v32
	v_fma_f32 v32, 0xbf1a4643, v39, -v32
	v_add_f32_e32 v46, v46, v51
	v_add_nc_u32_e32 v62, 0x800, v120
	s_delay_alu instid0(VALU_DEP_3) | instskip(SKIP_3) | instid1(VALU_DEP_3)
	v_add_f32_e32 v2, v32, v2
	v_fma_f32 v61, 0xbf7ba420, v39, -v61
	v_add_f32_e32 v39, v60, v45
	v_mul_f32_e32 v45, 0x3f763a35, v34
	v_add_f32_e32 v59, v61, v59
	v_add_nc_u32_e32 v61, 0x400, v120
	s_delay_alu instid0(VALU_DEP_3) | instskip(SKIP_1) | instid1(VALU_DEP_2)
	v_fmamk_f32 v60, v33, 0xbe8c1d8e, v45
	v_fma_f32 v45, 0xbe8c1d8e, v33, -v45
	v_add_f32_e32 v51, v60, v53
	v_mul_f32_e32 v53, 0xbf06c442, v34
	s_delay_alu instid0(VALU_DEP_3) | instskip(NEXT) | instid1(VALU_DEP_2)
	v_add_f32_e32 v45, v45, v52
	v_fmamk_f32 v52, v33, 0xbf59a7d5, v53
	s_delay_alu instid0(VALU_DEP_1) | instskip(NEXT) | instid1(VALU_DEP_1)
	v_dual_mul_f32 v32, 0xbeb8f4ab, v34 :: v_dual_add_f32 v49, v52, v49
	v_dual_add_f32 v30, v47, v30 :: v_dual_fmamk_f32 v47, v33, 0x3f6eb680, v32
	v_fma_f32 v32, 0x3f6eb680, v33, -v32
	s_delay_alu instid0(VALU_DEP_2) | instskip(NEXT) | instid1(VALU_DEP_2)
	v_add_f32_e32 v38, v47, v38
	v_add_f32_e32 v32, v32, v36
	v_fma_f32 v36, 0xbf59a7d5, v33, -v53
	v_mul_f32_e32 v47, 0x3f7ee86f, v34
	s_delay_alu instid0(VALU_DEP_2) | instskip(NEXT) | instid1(VALU_DEP_2)
	v_dual_mul_f32 v53, 0xbf2c7751, v34 :: v_dual_add_f32 v36, v36, v48
	v_fmamk_f32 v60, v33, 0x3dbcf732, v47
	v_fma_f32 v47, 0x3dbcf732, v33, -v47
	s_delay_alu instid0(VALU_DEP_1) | instskip(NEXT) | instid1(VALU_DEP_4)
	v_dual_add_f32 v52, v60, v54 :: v_dual_add_f32 v47, v47, v59
	v_fmamk_f32 v48, v33, 0x3f3d2fb0, v53
	v_fma_f32 v53, 0x3f3d2fb0, v33, -v53
	v_mul_f32_e32 v54, 0xbe3c28d5, v34
	v_mul_f32_e32 v34, 0x3f65296c, v34
	s_delay_alu instid0(VALU_DEP_4) | instskip(NEXT) | instid1(VALU_DEP_4)
	v_add_f32_e32 v48, v48, v50
	v_add_f32_e32 v50, v53, v57
	s_delay_alu instid0(VALU_DEP_4) | instskip(SKIP_3) | instid1(VALU_DEP_3)
	v_fmamk_f32 v44, v33, 0xbf7ba420, v54
	v_fma_f32 v53, 0xbf7ba420, v33, -v54
	v_fmamk_f32 v54, v33, 0x3ee437d1, v34
	v_fma_f32 v33, 0x3ee437d1, v33, -v34
	v_add_f32_e32 v34, v53, v41
	v_fmamk_f32 v41, v37, 0xbf59a7d5, v43
	s_delay_alu instid0(VALU_DEP_3)
	v_dual_mul_f32 v53, 0x3f65296c, v31 :: v_dual_add_f32 v2, v33, v2
	v_fma_f32 v33, 0xbf59a7d5, v37, -v43
	v_mul_f32_e32 v43, 0xbf7ee86f, v31
	v_add_f32_e32 v39, v54, v39
	v_dual_add_f32 v41, v41, v46 :: v_dual_mul_f32 v54, 0x3f4c4adb, v31
	v_fmamk_f32 v46, v37, 0x3ee437d1, v53
	v_fma_f32 v53, 0x3ee437d1, v37, -v53
	v_add_f32_e32 v30, v33, v30
	v_fmamk_f32 v33, v37, 0x3dbcf732, v43
	v_fma_f32 v43, 0x3dbcf732, v37, -v43
	s_delay_alu instid0(VALU_DEP_4) | instskip(SKIP_2) | instid1(VALU_DEP_4)
	v_dual_add_f32 v46, v46, v51 :: v_dual_add_f32 v45, v53, v45
	v_fma_f32 v53, 0xbf1a4643, v37, -v54
	v_mul_f32_e32 v42, 0xbe3c28d5, v29
	v_dual_add_f32 v32, v43, v32 :: v_dual_add_f32 v33, v33, v38
	v_fmamk_f32 v38, v37, 0xbf1a4643, v54
	v_mul_f32_e32 v43, 0xbe3c28d5, v31
	v_mul_f32_e32 v54, 0x3f2c7751, v31
	v_dual_add_f32 v36, v53, v36 :: v_dual_mul_f32 v51, 0xbeb8f4ab, v31
	v_mul_f32_e32 v31, 0xbf763a35, v31
	s_delay_alu instid0(VALU_DEP_3) | instskip(SKIP_2) | instid1(VALU_DEP_3)
	v_fma_f32 v40, 0x3f3d2fb0, v37, -v54
	v_fmamk_f32 v53, v37, 0xbf7ba420, v43
	v_fma_f32 v43, 0xbf7ba420, v37, -v43
	v_add_f32_e32 v34, v40, v34
	v_fmamk_f32 v40, v35, 0xbf7ba420, v42
	s_delay_alu instid0(VALU_DEP_3)
	v_add_f32_e32 v43, v43, v50
	v_add_f32_e32 v44, v44, v58
	v_fmamk_f32 v50, v37, 0xbe8c1d8e, v31
	v_fma_f32 v31, 0xbe8c1d8e, v37, -v31
	v_add_f32_e32 v85, v40, v41
	v_dual_add_f32 v38, v38, v49 :: v_dual_fmamk_f32 v49, v37, 0x3f6eb680, v51
	v_fma_f32 v51, 0x3f6eb680, v37, -v51
	v_add_f32_e32 v48, v53, v48
	v_dual_add_f32 v2, v31, v2 :: v_dual_mul_f32 v31, 0xbf06c442, v29
	s_delay_alu instid0(VALU_DEP_3) | instskip(SKIP_4) | instid1(VALU_DEP_4)
	v_add_f32_e32 v47, v51, v47
	v_fmamk_f32 v51, v37, 0x3f3d2fb0, v54
	v_add_f32_e32 v37, v50, v39
	v_mul_f32_e32 v39, 0x3eb8f4ab, v29
	v_mul_f32_e32 v40, 0x3f2c7751, v29
	v_add_f32_e32 v44, v51, v44
	s_delay_alu instid0(VALU_DEP_3) | instskip(NEXT) | instid1(VALU_DEP_1)
	v_dual_add_f32 v49, v49, v52 :: v_dual_fmamk_f32 v50, v35, 0x3f6eb680, v39
	v_add_f32_e32 v87, v50, v46
	v_fma_f32 v42, 0xbf7ba420, v35, -v42
	s_delay_alu instid0(VALU_DEP_1) | instskip(SKIP_3) | instid1(VALU_DEP_2)
	v_add_f32_e32 v86, v42, v30
	v_fma_f32 v30, 0x3f6eb680, v35, -v39
	v_fmamk_f32 v39, v35, 0xbf59a7d5, v31
	v_fma_f32 v31, 0xbf59a7d5, v35, -v31
	v_add_f32_e32 v96, v39, v33
	s_delay_alu instid0(VALU_DEP_2) | instskip(SKIP_1) | instid1(VALU_DEP_1)
	v_add_f32_e32 v97, v31, v32
	v_fma_f32 v31, 0x3f3d2fb0, v35, -v40
	v_dual_mul_f32 v32, 0x3f65296c, v29 :: v_dual_add_f32 v99, v31, v36
	v_dual_add_f32 v88, v30, v45 :: v_dual_fmamk_f32 v33, v35, 0x3f3d2fb0, v40
	s_delay_alu instid0(VALU_DEP_2) | instskip(SKIP_1) | instid1(VALU_DEP_2)
	v_fmamk_f32 v31, v35, 0x3ee437d1, v32
	v_mul_f32_e32 v30, 0xbf4c4adb, v29
	v_dual_add_f32 v98, v33, v38 :: v_dual_add_f32 v107, v31, v48
	s_delay_alu instid0(VALU_DEP_2) | instskip(SKIP_3) | instid1(VALU_DEP_2)
	v_fmamk_f32 v39, v35, 0xbf1a4643, v30
	v_mul_f32_e32 v33, 0xbf763a35, v29
	v_fma_f32 v30, 0xbf1a4643, v35, -v30
	v_mul_f32_e32 v29, 0x3f7ee86f, v29
	v_dual_fmamk_f32 v31, v35, 0xbe8c1d8e, v33 :: v_dual_add_f32 v106, v30, v47
	s_delay_alu instid0(VALU_DEP_1) | instskip(SKIP_4) | instid1(VALU_DEP_4)
	v_add_f32_e32 v109, v31, v44
	v_fma_f32 v30, 0x3ee437d1, v35, -v32
	v_fma_f32 v32, 0xbe8c1d8e, v35, -v33
	v_fmamk_f32 v33, v35, 0x3dbcf732, v29
	v_fma_f32 v29, 0x3dbcf732, v35, -v29
	v_dual_add_f32 v105, v39, v49 :: v_dual_add_f32 v108, v30, v43
	s_delay_alu instid0(VALU_DEP_4) | instskip(NEXT) | instid1(VALU_DEP_4)
	v_dual_add_f32 v110, v32, v34 :: v_dual_add_nc_u32 v39, 0x200, v120
	v_add_f32_e32 v111, v33, v37
	s_delay_alu instid0(VALU_DEP_4)
	v_add_f32_e32 v2, v29, v2
	ds_load_b32 v83, v104
	ds_load_2addr_b32 v[29:30], v120 offset0:119 offset1:136
	ds_load_2addr_b32 v[33:34], v120 offset0:221 offset1:238
	ds_load_2addr_b32 v[35:36], v61 offset0:101 offset1:118
	ds_load_2addr_b32 v[31:32], v61 offset0:203 offset1:220
	ds_load_2addr_b32 v[37:38], v120 offset0:17 offset1:34
	ds_load_2addr_b32 v[39:40], v39 offset0:127 offset1:144
	ds_load_2addr_b32 v[41:42], v61 offset0:237 offset1:254
	ds_load_2addr_b32 v[45:46], v120 offset0:153 offset1:170
	ds_load_2addr_b32 v[47:48], v61 offset0:135 offset1:152
	ds_load_2addr_b32 v[43:44], v120 offset0:51 offset1:68
	ds_load_2addr_b32 v[51:52], v61 offset0:33 offset1:50
	ds_load_2addr_b32 v[49:50], v62 offset0:15 offset1:32
	ds_load_2addr_b32 v[57:58], v120 offset0:187 offset1:204
	ds_load_2addr_b32 v[59:60], v61 offset0:169 offset1:186
	ds_load_2addr_b32 v[53:54], v120 offset0:85 offset1:102
	ds_load_2addr_b32 v[63:64], v61 offset0:67 offset1:84
	ds_load_2addr_b32 v[61:62], v62 offset0:49 offset1:66
	s_waitcnt lgkmcnt(0)
	s_barrier
	buffer_gl0_inv
	ds_store_2addr_b32 v19, v4, v22 offset1:7
	ds_store_2addr_b32 v19, v55, v56 offset0:14 offset1:21
	ds_store_2addr_b32 v19, v89, v90 offset0:28 offset1:35
	;; [unrolled: 1-line block ×7, first 2 shown]
	ds_store_b32 v19, v21 offset:448
	ds_store_2addr_b32 v20, v103, v85 offset1:7
	ds_store_2addr_b32 v20, v87, v96 offset0:14 offset1:21
	ds_store_2addr_b32 v20, v98, v105 offset0:28 offset1:35
	;; [unrolled: 1-line block ×7, first 2 shown]
	ds_store_b32 v20, v86 offset:448
	s_and_saveexec_b32 s1, s0
	s_cbranch_execz .LBB0_18
; %bb.17:
	v_dual_add_f32 v2, v0, v80 :: v_dual_add_f32 v19, v78, v77
	v_dual_sub_f32 v4, v82, v18 :: v_dual_sub_f32 v11, v81, v11
	v_add_f32_e32 v18, v80, v79
	s_delay_alu instid0(VALU_DEP_3) | instskip(SKIP_1) | instid1(VALU_DEP_4)
	v_add_f32_e32 v2, v2, v78
	v_sub_f32_e32 v8, v8, v12
	v_mul_f32_e32 v23, 0xbf7ee86f, v4
	v_dual_mul_f32 v56, 0xbf4c4adb, v4 :: v_dual_mul_f32 v81, 0xbf4c4adb, v11
	s_delay_alu instid0(VALU_DEP_4) | instskip(SKIP_2) | instid1(VALU_DEP_4)
	v_dual_add_f32 v2, v2, v74 :: v_dual_mul_f32 v55, 0xbf763a35, v4
	v_mul_f32_e32 v65, 0xbf06c442, v4
	v_mul_f32_e32 v21, 0xbf2c7751, v4
	v_fmamk_f32 v89, v18, 0xbf1a4643, v56
	s_delay_alu instid0(VALU_DEP_4)
	v_add_f32_e32 v2, v2, v73
	v_mul_f32_e32 v78, 0xbf2c7751, v11
	v_fmamk_f32 v90, v18, 0xbf59a7d5, v65
	v_fma_f32 v65, 0xbf59a7d5, v18, -v65
	v_dual_mul_f32 v80, 0xbf7ee86f, v11 :: v_dual_add_f32 v89, v0, v89
	v_fmamk_f32 v85, v18, 0x3f3d2fb0, v21
	v_mul_f32_e32 v20, 0xbeb8f4ab, v4
	v_fma_f32 v21, 0x3f3d2fb0, v18, -v21
	v_dual_mul_f32 v22, 0xbf65296c, v4 :: v_dual_add_f32 v65, v0, v65
	v_dual_fmamk_f32 v87, v18, 0x3dbcf732, v23 :: v_dual_fmamk_f32 v92, v19, 0x3dbcf732, v80
	v_fma_f32 v23, 0x3dbcf732, v18, -v23
	v_dual_add_f32 v2, v2, v71 :: v_dual_fmamk_f32 v93, v19, 0xbf1a4643, v81
	v_fma_f32 v80, 0x3dbcf732, v19, -v80
	v_dual_add_f32 v85, v0, v85 :: v_dual_fmamk_f32 v84, v18, 0x3f6eb680, v20
	s_delay_alu instid0(VALU_DEP_4)
	v_dual_add_f32 v23, v0, v23 :: v_dual_fmamk_f32 v88, v18, 0xbe8c1d8e, v55
	v_fma_f32 v55, 0xbe8c1d8e, v18, -v55
	v_dual_add_f32 v21, v0, v21 :: v_dual_mul_f32 v82, 0xbe3c28d5, v11
	v_fmamk_f32 v86, v18, 0x3ee437d1, v22
	v_dual_mul_f32 v4, 0xbe3c28d5, v4 :: v_dual_add_f32 v87, v0, v87
	v_fma_f32 v20, 0x3f6eb680, v18, -v20
	v_add_f32_e32 v55, v0, v55
	v_dual_add_f32 v21, v80, v21 :: v_dual_fmamk_f32 v94, v19, 0xbf7ba420, v82
	v_add_f32_e32 v86, v0, v86
	v_add_f32_e32 v2, v2, v67
	v_dual_fmamk_f32 v91, v18, 0xbf7ba420, v4 :: v_dual_add_f32 v20, v0, v20
	v_dual_mul_f32 v80, 0x3f763a35, v11 :: v_dual_sub_f32 v17, v70, v17
	s_delay_alu instid0(VALU_DEP_2) | instskip(SKIP_3) | instid1(VALU_DEP_4)
	v_dual_add_f32 v2, v2, v9 :: v_dual_add_f32 v91, v0, v91
	v_add_f32_e32 v90, v0, v90
	v_sub_f32_e32 v10, v76, v10
	v_fma_f32 v22, 0x3ee437d1, v18, -v22
	v_add_f32_e32 v2, v2, v3
	v_fma_f32 v56, 0xbf1a4643, v18, -v56
	v_fma_f32 v4, 0xbf7ba420, v18, -v4
	v_fmamk_f32 v18, v19, 0x3f3d2fb0, v78
	v_add_f32_e32 v84, v0, v84
	v_add_f32_e32 v2, v2, v7
	v_add_f32_e32 v22, v0, v22
	v_fma_f32 v78, 0x3f3d2fb0, v19, -v78
	v_fma_f32 v81, 0xbf1a4643, v19, -v81
	v_add3_u32 v6, 0, v6, v121
	v_dual_add_f32 v2, v2, v66 :: v_dual_sub_f32 v15, v15, v16
	v_add_f32_e32 v67, v67, v69
	v_sub_f32_e32 v13, v13, v14
	s_delay_alu instid0(VALU_DEP_3) | instskip(SKIP_2) | instid1(VALU_DEP_4)
	v_dual_add_f32 v9, v9, v66 :: v_dual_add_f32 v2, v2, v69
	v_add_f32_e32 v3, v3, v7
	v_sub_f32_e32 v1, v1, v5
	v_mul_f32_e32 v12, 0x3f65296c, v13
	s_delay_alu instid0(VALU_DEP_4) | instskip(SKIP_1) | instid1(VALU_DEP_3)
	v_dual_mul_f32 v69, 0xbf4c4adb, v13 :: v_dual_add_f32 v2, v2, v68
	v_dual_add_f32 v68, v71, v68 :: v_dual_mul_f32 v71, 0xbf763a35, v15
	v_fmamk_f32 v66, v67, 0x3ee437d1, v12
	v_fma_f32 v12, 0x3ee437d1, v67, -v12
	s_delay_alu instid0(VALU_DEP_4) | instskip(SKIP_3) | instid1(VALU_DEP_4)
	v_add_f32_e32 v2, v2, v28
	v_add_f32_e32 v28, v73, v28
	;; [unrolled: 1-line block ×3, first 2 shown]
	v_dual_add_f32 v56, v0, v56 :: v_dual_mul_f32 v73, 0xbf7ee86f, v17
	v_dual_add_f32 v2, v2, v75 :: v_dual_mul_f32 v75, 0xbf65296c, v10
	v_mul_f32_e32 v7, 0xbe3c28d5, v1
	s_delay_alu instid0(VALU_DEP_2) | instskip(NEXT) | instid1(VALU_DEP_1)
	v_add_f32_e32 v2, v2, v77
	v_add_f32_e32 v2, v2, v79
	v_fma_f32 v79, 0xbf7ba420, v19, -v82
	s_delay_alu instid0(VALU_DEP_1)
	v_dual_add_f32 v23, v79, v23 :: v_dual_add_f32 v88, v0, v88
	v_add_f32_e32 v0, v0, v4
	v_add_f32_e32 v4, v18, v84
	v_mul_f32_e32 v84, 0x3f65296c, v11
	v_dual_add_f32 v18, v78, v20 :: v_dual_fmamk_f32 v79, v19, 0xbe8c1d8e, v80
	v_fma_f32 v80, 0xbe8c1d8e, v19, -v80
	s_delay_alu instid0(VALU_DEP_3) | instskip(NEXT) | instid1(VALU_DEP_2)
	v_fma_f32 v76, 0x3ee437d1, v19, -v84
	v_add_f32_e32 v56, v80, v56
	s_delay_alu instid0(VALU_DEP_2) | instskip(SKIP_2) | instid1(VALU_DEP_3)
	v_dual_add_f32 v65, v76, v65 :: v_dual_mul_f32 v78, 0x3f06c442, v11
	v_mul_f32_e32 v11, 0x3eb8f4ab, v11
	v_mul_f32_e32 v76, 0xbf4c4adb, v10
	v_fmamk_f32 v82, v19, 0xbf59a7d5, v78
	v_fma_f32 v78, 0xbf59a7d5, v19, -v78
	s_delay_alu instid0(VALU_DEP_4) | instskip(SKIP_1) | instid1(VALU_DEP_3)
	v_fmamk_f32 v80, v19, 0x3f6eb680, v11
	v_fma_f32 v11, 0x3f6eb680, v19, -v11
	v_dual_add_f32 v55, v78, v55 :: v_dual_add_f32 v78, v79, v89
	v_fmamk_f32 v79, v19, 0x3ee437d1, v84
	s_delay_alu instid0(VALU_DEP_4) | instskip(SKIP_3) | instid1(VALU_DEP_4)
	v_dual_add_f32 v19, v80, v91 :: v_dual_fmamk_f32 v80, v74, 0x3ee437d1, v75
	v_fma_f32 v75, 0x3ee437d1, v74, -v75
	v_dual_add_f32 v0, v11, v0 :: v_dual_mul_f32 v11, 0x3e3c28d5, v10
	v_fmamk_f32 v84, v74, 0xbf1a4643, v76
	v_add_f32_e32 v4, v80, v4
	s_delay_alu instid0(VALU_DEP_4) | instskip(SKIP_4) | instid1(VALU_DEP_4)
	v_add_f32_e32 v18, v75, v18
	v_fma_f32 v75, 0xbf1a4643, v74, -v76
	v_fmamk_f32 v76, v74, 0xbf7ba420, v11
	v_mul_f32_e32 v80, 0x3f763a35, v10
	v_fma_f32 v11, 0xbf7ba420, v74, -v11
	v_dual_add_f32 v21, v75, v21 :: v_dual_add_f32 v22, v81, v22
	v_add_f32_e32 v81, v94, v87
	v_add_f32_e32 v77, v93, v86
	s_delay_alu instid0(VALU_DEP_3) | instskip(SKIP_1) | instid1(VALU_DEP_3)
	v_add_f32_e32 v11, v11, v22
	v_fma_f32 v22, 0xbe8c1d8e, v74, -v80
	v_dual_add_f32 v75, v76, v77 :: v_dual_mul_f32 v76, 0x3f2c7751, v10
	v_fmamk_f32 v77, v74, 0xbe8c1d8e, v80
	v_mul_f32_e32 v80, 0xbeb8f4ab, v10
	v_add_f32_e32 v20, v92, v85
	s_delay_alu instid0(VALU_DEP_3) | instskip(NEXT) | instid1(VALU_DEP_2)
	v_dual_add_f32 v22, v22, v23 :: v_dual_add_f32 v77, v77, v81
	v_dual_fmamk_f32 v23, v74, 0x3f6eb680, v80 :: v_dual_add_f32 v20, v84, v20
	v_fmamk_f32 v84, v74, 0x3f3d2fb0, v76
	v_fma_f32 v76, 0x3f3d2fb0, v74, -v76
	v_fma_f32 v80, 0x3f6eb680, v74, -v80
	s_delay_alu instid0(VALU_DEP_4) | instskip(SKIP_1) | instid1(VALU_DEP_4)
	v_add_f32_e32 v23, v23, v78
	v_add_f32_e32 v79, v79, v90
	v_dual_add_f32 v55, v76, v55 :: v_dual_mul_f32 v76, 0xbf7ee86f, v10
	v_mul_f32_e32 v10, 0xbf06c442, v10
	s_delay_alu instid0(VALU_DEP_2) | instskip(SKIP_1) | instid1(VALU_DEP_3)
	v_fmamk_f32 v70, v74, 0x3dbcf732, v76
	v_fma_f32 v76, 0x3dbcf732, v74, -v76
	v_fmamk_f32 v78, v74, 0xbf59a7d5, v10
	v_fma_f32 v10, 0xbf59a7d5, v74, -v10
	v_fmamk_f32 v74, v28, 0x3dbcf732, v73
	s_delay_alu instid0(VALU_DEP_4) | instskip(NEXT) | instid1(VALU_DEP_4)
	v_add_f32_e32 v65, v76, v65
	v_dual_mul_f32 v76, 0xbe3c28d5, v17 :: v_dual_add_f32 v19, v78, v19
	s_delay_alu instid0(VALU_DEP_3) | instskip(SKIP_2) | instid1(VALU_DEP_4)
	v_add_f32_e32 v4, v74, v4
	v_add_f32_e32 v0, v10, v0
	v_fma_f32 v10, 0x3dbcf732, v28, -v73
	v_fmamk_f32 v74, v28, 0xbf7ba420, v76
	v_fma_f32 v76, 0xbf7ba420, v28, -v76
	v_mul_f32_e32 v73, 0x3f763a35, v17
	v_mul_f32_e32 v78, 0x3eb8f4ab, v17
	v_add_f32_e32 v10, v10, v18
	s_delay_alu instid0(VALU_DEP_4)
	v_dual_add_f32 v20, v74, v20 :: v_dual_add_f32 v21, v76, v21
	v_add_f32_e32 v82, v82, v88
	v_fmamk_f32 v18, v28, 0xbe8c1d8e, v73
	v_fma_f32 v73, 0xbe8c1d8e, v28, -v73
	v_fmamk_f32 v74, v28, 0x3f6eb680, v78
	v_fma_f32 v76, 0x3f6eb680, v28, -v78
	v_mul_f32_e32 v78, 0x3f4c4adb, v17
	v_add_f32_e32 v18, v18, v75
	v_add_f32_e32 v11, v73, v11
	v_mul_f32_e32 v73, 0xbf06c442, v17
	v_mul_f32_e32 v75, 0xbf65296c, v17
	v_fma_f32 v16, 0xbf1a4643, v28, -v78
	v_dual_add_f32 v56, v80, v56 :: v_dual_mul_f32 v17, 0x3f2c7751, v17
	v_add_f32_e32 v74, v74, v77
	s_delay_alu instid0(VALU_DEP_3)
	v_add_f32_e32 v16, v16, v65
	v_fmamk_f32 v65, v68, 0xbe8c1d8e, v71
	v_add_f32_e32 v22, v76, v22
	v_fmamk_f32 v76, v28, 0xbf59a7d5, v73
	v_fma_f32 v73, 0xbf59a7d5, v28, -v73
	v_fma_f32 v71, 0xbe8c1d8e, v68, -v71
	s_delay_alu instid0(VALU_DEP_3) | instskip(NEXT) | instid1(VALU_DEP_2)
	v_dual_add_f32 v4, v65, v4 :: v_dual_add_f32 v23, v76, v23
	v_dual_add_f32 v10, v71, v10 :: v_dual_mul_f32 v71, 0xbf65296c, v15
	s_delay_alu instid0(VALU_DEP_4) | instskip(SKIP_1) | instid1(VALU_DEP_2)
	v_dual_add_f32 v56, v73, v56 :: v_dual_fmamk_f32 v73, v28, 0x3f3d2fb0, v17
	v_fma_f32 v17, 0x3f3d2fb0, v28, -v17
	v_add_f32_e32 v19, v73, v19
	s_delay_alu instid0(VALU_DEP_2) | instskip(NEXT) | instid1(VALU_DEP_1)
	v_dual_add_f32 v0, v17, v0 :: v_dual_mul_f32 v17, 0x3f2c7751, v15
	v_fmamk_f32 v65, v68, 0x3f3d2fb0, v17
	v_fma_f32 v17, 0x3f3d2fb0, v68, -v17
	v_add_f32_e32 v81, v84, v82
	s_delay_alu instid0(VALU_DEP_3)
	v_dual_add_f32 v18, v65, v18 :: v_dual_fmamk_f32 v65, v68, 0x3ee437d1, v71
	v_fmamk_f32 v77, v28, 0x3ee437d1, v75
	v_fma_f32 v75, 0x3ee437d1, v28, -v75
	v_add_f32_e32 v11, v17, v11
	v_fma_f32 v17, 0x3ee437d1, v68, -v71
	v_add_f32_e32 v65, v65, v74
	v_mul_f32_e32 v71, 0x3f7ee86f, v15
	v_add_f32_e32 v55, v75, v55
	v_fmamk_f32 v75, v28, 0xbf1a4643, v78
	v_mul_f32_e32 v28, 0x3f06c442, v15
	v_dual_add_f32 v70, v70, v79 :: v_dual_add_f32 v17, v17, v22
	v_fmamk_f32 v22, v68, 0x3dbcf732, v71
	v_fma_f32 v71, 0x3dbcf732, v68, -v71
	s_delay_alu instid0(VALU_DEP_4) | instskip(SKIP_1) | instid1(VALU_DEP_4)
	v_fmamk_f32 v73, v68, 0xbf59a7d5, v28
	v_fma_f32 v28, 0xbf59a7d5, v68, -v28
	v_dual_add_f32 v77, v77, v81 :: v_dual_add_f32 v22, v22, v23
	s_delay_alu instid0(VALU_DEP_4) | instskip(NEXT) | instid1(VALU_DEP_3)
	v_add_f32_e32 v23, v71, v56
	v_dual_add_f32 v20, v73, v20 :: v_dual_add_f32 v21, v28, v21
	v_mul_f32_e32 v28, 0xbe3c28d5, v15
	s_delay_alu instid0(VALU_DEP_1) | instskip(SKIP_1) | instid1(VALU_DEP_1)
	v_fmamk_f32 v73, v68, 0xbf7ba420, v28
	v_fma_f32 v28, 0xbf7ba420, v68, -v28
	v_dual_add_f32 v73, v73, v77 :: v_dual_add_f32 v28, v28, v55
	v_mul_f32_e32 v55, 0xbeb8f4ab, v15
	v_mul_f32_e32 v15, 0xbf4c4adb, v15
	s_delay_alu instid0(VALU_DEP_2) | instskip(SKIP_1) | instid1(VALU_DEP_3)
	v_fmamk_f32 v14, v68, 0x3f6eb680, v55
	v_fma_f32 v55, 0x3f6eb680, v68, -v55
	v_fmamk_f32 v56, v68, 0xbf1a4643, v15
	v_fma_f32 v15, 0xbf1a4643, v68, -v15
	v_fma_f32 v68, 0xbf1a4643, v67, -v69
	s_delay_alu instid0(VALU_DEP_3) | instskip(SKIP_3) | instid1(VALU_DEP_3)
	v_dual_add_f32 v16, v55, v16 :: v_dual_add_f32 v19, v56, v19
	v_fmamk_f32 v55, v67, 0xbf1a4643, v69
	v_mul_f32_e32 v56, 0x3f763a35, v13
	v_mul_f32_e32 v69, 0xbf06c442, v13
	v_dual_add_f32 v19, v66, v19 :: v_dual_add_f32 v4, v55, v4
	s_delay_alu instid0(VALU_DEP_3) | instskip(SKIP_3) | instid1(VALU_DEP_3)
	v_fmamk_f32 v55, v67, 0xbe8c1d8e, v56
	v_fma_f32 v56, 0xbe8c1d8e, v67, -v56
	v_add_f32_e32 v70, v75, v70
	v_add_f32_e32 v10, v68, v10
	v_dual_add_f32 v20, v55, v20 :: v_dual_add_f32 v21, v56, v21
	v_fmamk_f32 v55, v67, 0xbf59a7d5, v69
	v_mul_f32_e32 v56, 0x3f7ee86f, v13
	s_delay_alu instid0(VALU_DEP_2) | instskip(NEXT) | instid1(VALU_DEP_2)
	v_add_f32_e32 v55, v55, v65
	v_fmamk_f32 v65, v67, 0x3dbcf732, v56
	v_dual_add_f32 v0, v15, v0 :: v_dual_mul_f32 v15, 0xbeb8f4ab, v13
	v_fma_f32 v56, 0x3dbcf732, v67, -v56
	s_delay_alu instid0(VALU_DEP_2) | instskip(NEXT) | instid1(VALU_DEP_3)
	v_dual_add_f32 v65, v65, v73 :: v_dual_add_f32 v0, v12, v0
	v_fmamk_f32 v68, v67, 0x3f6eb680, v15
	v_fma_f32 v15, 0x3f6eb680, v67, -v15
	s_delay_alu instid0(VALU_DEP_4) | instskip(SKIP_1) | instid1(VALU_DEP_3)
	v_add_f32_e32 v28, v56, v28
	v_mul_f32_e32 v56, 0xbe3c28d5, v13
	v_dual_add_f32 v18, v68, v18 :: v_dual_add_f32 v11, v15, v11
	v_fma_f32 v15, 0xbf59a7d5, v67, -v69
	v_mul_f32_e32 v68, 0xbf2c7751, v13
	s_delay_alu instid0(VALU_DEP_4) | instskip(NEXT) | instid1(VALU_DEP_3)
	v_dual_add_f32 v14, v14, v70 :: v_dual_fmamk_f32 v13, v67, 0xbf7ba420, v56
	v_add_f32_e32 v15, v15, v17
	s_delay_alu instid0(VALU_DEP_3) | instskip(SKIP_1) | instid1(VALU_DEP_4)
	v_fmamk_f32 v17, v67, 0x3f3d2fb0, v68
	v_fma_f32 v68, 0x3f3d2fb0, v67, -v68
	v_add_f32_e32 v13, v13, v14
	s_delay_alu instid0(VALU_DEP_2) | instskip(SKIP_2) | instid1(VALU_DEP_2)
	v_dual_add_f32 v17, v17, v22 :: v_dual_add_f32 v22, v68, v23
	v_fma_f32 v23, 0xbf7ba420, v67, -v56
	v_mul_f32_e32 v56, 0xbf06c442, v8
	v_add_f32_e32 v14, v23, v16
	s_delay_alu instid0(VALU_DEP_2) | instskip(SKIP_2) | instid1(VALU_DEP_3)
	v_fmamk_f32 v16, v9, 0xbf59a7d5, v56
	v_mul_f32_e32 v23, 0x3f65296c, v8
	v_fma_f32 v12, 0xbf59a7d5, v9, -v56
	v_add_f32_e32 v4, v16, v4
	v_mul_f32_e32 v16, 0xbf7ee86f, v8
	s_delay_alu instid0(VALU_DEP_4) | instskip(SKIP_4) | instid1(VALU_DEP_4)
	v_fmamk_f32 v56, v9, 0x3ee437d1, v23
	v_fma_f32 v23, 0x3ee437d1, v9, -v23
	v_add_f32_e32 v10, v12, v10
	v_mul_f32_e32 v12, 0x3f4c4adb, v8
	v_fmamk_f32 v66, v9, 0x3dbcf732, v16
	v_dual_add_f32 v20, v56, v20 :: v_dual_add_f32 v21, v23, v21
	v_fma_f32 v16, 0x3dbcf732, v9, -v16
	s_delay_alu instid0(VALU_DEP_4) | instskip(SKIP_2) | instid1(VALU_DEP_4)
	v_fmamk_f32 v23, v9, 0xbf1a4643, v12
	v_mul_f32_e32 v56, 0xbeb8f4ab, v8
	v_fma_f32 v12, 0xbf1a4643, v9, -v12
	v_dual_add_f32 v18, v66, v18 :: v_dual_add_f32 v11, v16, v11
	s_delay_alu instid0(VALU_DEP_4) | instskip(NEXT) | instid1(VALU_DEP_3)
	v_dual_add_f32 v16, v23, v55 :: v_dual_mul_f32 v23, 0xbe3c28d5, v8
	v_dual_fmamk_f32 v55, v9, 0x3f6eb680, v56 :: v_dual_add_f32 v12, v12, v15
	v_fma_f32 v15, 0x3f6eb680, v9, -v56
	v_mul_f32_e32 v56, 0x3f2c7751, v8
	s_delay_alu instid0(VALU_DEP_4) | instskip(SKIP_2) | instid1(VALU_DEP_4)
	v_fmamk_f32 v66, v9, 0xbf7ba420, v23
	v_fma_f32 v23, 0xbf7ba420, v9, -v23
	v_mul_f32_e32 v8, 0xbf763a35, v8
	v_dual_add_f32 v15, v15, v28 :: v_dual_fmamk_f32 v28, v9, 0x3f3d2fb0, v56
	v_add_f32_e32 v55, v55, v65
	s_delay_alu instid0(VALU_DEP_3) | instskip(SKIP_1) | instid1(VALU_DEP_4)
	v_dual_add_f32 v22, v23, v22 :: v_dual_fmamk_f32 v23, v9, 0xbe8c1d8e, v8
	v_fma_f32 v8, 0xbe8c1d8e, v9, -v8
	v_add_f32_e32 v5, v28, v13
	v_fma_f32 v13, 0x3f3d2fb0, v9, -v56
	s_delay_alu instid0(VALU_DEP_3) | instskip(NEXT) | instid1(VALU_DEP_2)
	v_dual_add_f32 v17, v66, v17 :: v_dual_add_f32 v0, v8, v0
	v_dual_mul_f32 v8, 0xbf06c442, v1 :: v_dual_add_f32 v9, v13, v14
	v_dual_add_f32 v13, v23, v19 :: v_dual_mul_f32 v14, 0x3eb8f4ab, v1
	v_fmamk_f32 v19, v3, 0xbf7ba420, v7
	v_fma_f32 v7, 0xbf7ba420, v3, -v7
	s_delay_alu instid0(VALU_DEP_3) | instskip(NEXT) | instid1(VALU_DEP_3)
	v_fmamk_f32 v23, v3, 0x3f6eb680, v14
	v_add_f32_e32 v4, v19, v4
	s_delay_alu instid0(VALU_DEP_3) | instskip(SKIP_4) | instid1(VALU_DEP_4)
	v_add_f32_e32 v7, v7, v10
	v_fmamk_f32 v10, v3, 0xbf59a7d5, v8
	v_fma_f32 v14, 0x3f6eb680, v3, -v14
	v_dual_add_f32 v19, v23, v20 :: v_dual_mul_f32 v20, 0x3f2c7751, v1
	v_fma_f32 v8, 0xbf59a7d5, v3, -v8
	v_add_f32_e32 v10, v10, v18
	v_mul_f32_e32 v18, 0xbf4c4adb, v1
	s_delay_alu instid0(VALU_DEP_4) | instskip(SKIP_1) | instid1(VALU_DEP_3)
	v_dual_add_f32 v14, v14, v21 :: v_dual_fmamk_f32 v21, v3, 0x3f3d2fb0, v20
	v_fma_f32 v20, 0x3f3d2fb0, v3, -v20
	v_dual_add_f32 v8, v8, v11 :: v_dual_fmamk_f32 v23, v3, 0xbf1a4643, v18
	s_delay_alu instid0(VALU_DEP_3) | instskip(SKIP_1) | instid1(VALU_DEP_3)
	v_dual_mul_f32 v11, 0x3f65296c, v1 :: v_dual_add_f32 v16, v21, v16
	v_fma_f32 v18, 0xbf1a4643, v3, -v18
	v_dual_add_f32 v12, v20, v12 :: v_dual_add_f32 v21, v23, v55
	v_mul_f32_e32 v23, 0xbf763a35, v1
	s_delay_alu instid0(VALU_DEP_4) | instskip(SKIP_2) | instid1(VALU_DEP_4)
	v_fmamk_f32 v20, v3, 0x3ee437d1, v11
	v_fma_f32 v11, 0x3ee437d1, v3, -v11
	v_mul_f32_e32 v1, 0x3f7ee86f, v1
	v_dual_add_f32 v15, v18, v15 :: v_dual_fmamk_f32 v18, v3, 0xbe8c1d8e, v23
	s_delay_alu instid0(VALU_DEP_4) | instskip(NEXT) | instid1(VALU_DEP_4)
	v_add_f32_e32 v17, v20, v17
	v_add_f32_e32 v11, v11, v22
	s_delay_alu instid0(VALU_DEP_4) | instskip(SKIP_4) | instid1(VALU_DEP_4)
	v_fmamk_f32 v22, v3, 0x3dbcf732, v1
	v_fma_f32 v1, 0x3dbcf732, v3, -v1
	v_fma_f32 v20, 0xbe8c1d8e, v3, -v23
	v_add_nc_u32_e32 v3, 0x400, v6
	v_dual_add_f32 v5, v18, v5 :: v_dual_add_nc_u32 v18, 0x800, v6
	v_dual_add_f32 v13, v22, v13 :: v_dual_add_f32 v0, v1, v0
	s_delay_alu instid0(VALU_DEP_4)
	v_add_f32_e32 v9, v20, v9
	ds_store_2addr_b32 v3, v2, v4 offset0:220 offset1:227
	ds_store_2addr_b32 v3, v19, v10 offset0:234 offset1:241
	;; [unrolled: 1-line block ×8, first 2 shown]
	ds_store_b32 v6, v7 offset:2352
.LBB0_18:
	s_or_b32 exec_lo, exec_lo, s1
	s_waitcnt lgkmcnt(0)
	s_barrier
	buffer_gl0_inv
	s_and_saveexec_b32 s0, vcc_lo
	s_cbranch_execz .LBB0_20
; %bb.19:
	v_dual_mov_b32 v56, 0 :: v_dual_add_nc_u32 v69, 0x66, v26
	v_add_nc_u32_e32 v73, 51, v26
	s_delay_alu instid0(VALU_DEP_2) | instskip(NEXT) | instid1(VALU_DEP_1)
	v_dual_mov_b32 v28, v56 :: v_dual_lshlrev_b32 v55, 2, v69
	v_lshlrev_b64 v[0:1], 3, v[55:56]
	s_delay_alu instid0(VALU_DEP_2) | instskip(NEXT) | instid1(VALU_DEP_2)
	v_lshlrev_b64 v[27:28], 3, v[27:28]
	v_add_co_u32 v0, vcc_lo, s4, v0
	s_delay_alu instid0(VALU_DEP_3)
	v_add_co_ci_u32_e32 v1, vcc_lo, s5, v1, vcc_lo
	s_clause 0x1
	global_load_b128 v[12:15], v[0:1], off offset:896
	global_load_b128 v[8:11], v[0:1], off offset:912
	v_add_nc_u32_e32 v70, 0x55, v26
	v_add_nc_u32_e32 v92, 0x800, v120
	;; [unrolled: 1-line block ×3, first 2 shown]
	s_delay_alu instid0(VALU_DEP_3) | instskip(NEXT) | instid1(VALU_DEP_1)
	v_lshlrev_b32_e32 v55, 2, v70
	v_lshlrev_b64 v[0:1], 3, v[55:56]
	s_delay_alu instid0(VALU_DEP_1) | instskip(NEXT) | instid1(VALU_DEP_2)
	v_add_co_u32 v0, vcc_lo, s4, v0
	v_add_co_ci_u32_e32 v1, vcc_lo, s5, v1, vcc_lo
	s_clause 0x1
	global_load_b128 v[4:7], v[0:1], off offset:896
	global_load_b128 v[0:3], v[0:1], off offset:912
	v_add_nc_u32_e32 v71, 0x44, v26
	s_delay_alu instid0(VALU_DEP_1) | instskip(NEXT) | instid1(VALU_DEP_1)
	v_lshlrev_b32_e32 v55, 2, v71
	v_lshlrev_b64 v[16:17], 3, v[55:56]
	v_lshlrev_b32_e32 v55, 2, v73
	s_delay_alu instid0(VALU_DEP_1) | instskip(NEXT) | instid1(VALU_DEP_3)
	v_lshlrev_b64 v[65:66], 3, v[55:56]
	v_add_co_u32 v16, vcc_lo, s4, v16
	s_delay_alu instid0(VALU_DEP_4)
	v_add_co_ci_u32_e32 v17, vcc_lo, s5, v17, vcc_lo
	s_clause 0x1
	global_load_b128 v[20:23], v[16:17], off offset:896
	global_load_b128 v[16:19], v[16:17], off offset:912
	v_add_co_u32 v65, vcc_lo, s4, v65
	v_add_co_ci_u32_e32 v66, vcc_lo, s5, v66, vcc_lo
	s_clause 0x1
	global_load_b128 v[75:78], v[65:66], off offset:896
	global_load_b128 v[79:82], v[65:66], off offset:912
	v_lshlrev_b32_e32 v55, 2, v72
	s_delay_alu instid0(VALU_DEP_1) | instskip(NEXT) | instid1(VALU_DEP_1)
	v_lshlrev_b64 v[65:66], 3, v[55:56]
	v_add_co_u32 v65, vcc_lo, s4, v65
	s_delay_alu instid0(VALU_DEP_2)
	v_add_co_ci_u32_e32 v66, vcc_lo, s5, v66, vcc_lo
	s_clause 0x1
	global_load_b128 v[84:87], v[65:66], off offset:896
	global_load_b128 v[88:91], v[65:66], off offset:912
	ds_load_2addr_b32 v[65:66], v120 offset0:221 offset1:238
	ds_load_2addr_b32 v[109:110], v120 offset0:85 offset1:102
	;; [unrolled: 1-line block ×7, first 2 shown]
	v_add_co_u32 v27, vcc_lo, s4, v27
	v_add_co_ci_u32_e32 v28, vcc_lo, s5, v28, vcc_lo
	s_waitcnt vmcnt(8)
	v_dual_mul_f32 v119, v31, v9 :: v_dual_add_nc_u32 v94, 0x200, v120
	ds_load_2addr_b32 v[121:122], v92 offset0:49 offset1:66
	ds_load_2addr_b32 v[123:124], v74 offset0:203 offset1:220
	;; [unrolled: 1-line block ×6, first 2 shown]
	s_waitcnt lgkmcnt(4)
	v_fmac_f32_e32 v119, v123, v8
	v_mul_f32_e32 v9, v123, v9
	s_delay_alu instid0(VALU_DEP_1) | instskip(SKIP_1) | instid1(VALU_DEP_1)
	v_fma_f32 v8, v31, v8, -v9
	v_lshlrev_b32_e32 v55, 2, v101
	v_lshlrev_b64 v[92:93], 3, v[55:56]
	v_mul_f32_e32 v55, v62, v11
	ds_load_2addr_b32 v[133:134], v94 offset0:127 offset1:144
	ds_load_2addr_b32 v[135:136], v74 offset0:237 offset1:254
	v_add_co_u32 v105, vcc_lo, s4, v92
	v_add_co_ci_u32_e32 v106, vcc_lo, s5, v93, vcc_lo
	s_clause 0x3
	global_load_b128 v[92:95], v[27:28], off offset:912
	global_load_b128 v[96:99], v[27:28], off offset:896
	;; [unrolled: 1-line block ×4, first 2 shown]
	v_mul_f32_e32 v27, v33, v13
	v_fmac_f32_e32 v55, v122, v10
	v_dual_mul_f32 v13, v65, v13 :: v_dual_mul_f32 v28, v64, v15
	v_mul_f32_e32 v15, v118, v15
	v_add_co_u32 v24, vcc_lo, s8, v24
	s_delay_alu instid0(VALU_DEP_4) | instskip(NEXT) | instid1(VALU_DEP_4)
	v_sub_f32_e32 v140, v119, v55
	v_fma_f32 v9, v33, v12, -v13
	v_mul_f32_e32 v11, v122, v11
	v_fmac_f32_e32 v28, v118, v14
	v_fma_f32 v14, v64, v14, -v15
	v_fmac_f32_e32 v27, v65, v12
	s_waitcnt vmcnt(11)
	v_mul_f32_e32 v13, v63, v7
	v_fma_f32 v12, v62, v10, -v11
	v_mul_f32_e32 v10, v58, v5
	v_dual_mul_f32 v5, v112, v5 :: v_dual_sub_f32 v118, v9, v14
	v_sub_f32_e32 v142, v14, v9
	s_delay_alu instid0(VALU_DEP_4)
	v_sub_f32_e32 v64, v9, v12
	v_dual_add_f32 v144, v9, v12 :: v_dual_add_f32 v9, v54, v9
	v_fmac_f32_e32 v10, v112, v4
	s_waitcnt vmcnt(9)
	v_mul_f32_e32 v112, v52, v23
	v_dual_sub_f32 v138, v28, v119 :: v_dual_fmac_f32 v13, v117, v6
	v_dual_mul_f32 v7, v117, v7 :: v_dual_sub_f32 v62, v14, v8
	v_sub_f32_e32 v122, v12, v8
	v_add_f32_e32 v123, v14, v8
	v_sub_f32_e32 v139, v28, v27
	v_mul_f32_e32 v31, v61, v3
	s_waitcnt lgkmcnt(4)
	v_dual_add_f32 v141, v27, v55 :: v_dual_fmac_f32 v112, v128, v22
	v_fma_f32 v4, v58, v4, -v5
	v_dual_add_f32 v9, v9, v14 :: v_dual_sub_f32 v14, v10, v13
	v_fma_f32 v63, v63, v6, -v7
	v_mul_f32_e32 v3, v121, v3
	v_add_f32_e32 v65, v28, v119
	v_dual_sub_f32 v137, v27, v55 :: v_dual_add_f32 v146, v53, v4
	v_mul_f32_e32 v5, v128, v23
	s_delay_alu instid0(VALU_DEP_4)
	v_fma_f32 v58, v61, v2, -v3
	s_waitcnt vmcnt(8)
	v_mul_f32_e32 v6, v125, v17
	v_mul_f32_e32 v7, v111, v21
	v_fma_f32 v3, -0.5, v65, v110
	v_dual_add_f32 v65, v118, v122 :: v_dual_add_f32 v118, v139, v140
	v_fmac_f32_e32 v31, v121, v2
	v_mul_f32_e32 v121, v59, v17
	v_mul_f32_e32 v61, v57, v21
	v_fma_f32 v22, v52, v22, -v5
	v_fma_f32 v52, v59, v16, -v6
	v_sub_f32_e32 v11, v27, v28
	v_fmac_f32_e32 v121, v125, v16
	v_fma_f32 v16, v57, v20, -v7
	s_waitcnt lgkmcnt(3)
	v_mul_f32_e32 v17, v130, v19
	v_sub_f32_e32 v15, v55, v119
	v_sub_f32_e32 v143, v8, v12
	v_add_f32_e32 v27, v27, v110
	v_mul_f32_e32 v117, v50, v19
	v_fmac_f32_e32 v61, v111, v20
	v_fma_f32 v57, v50, v18, -v17
	s_waitcnt vmcnt(7)
	v_mul_f32_e32 v50, v46, v76
	v_mul_f32_e32 v20, v116, v76
	s_waitcnt vmcnt(6)
	v_dual_mul_f32 v76, v129, v82 :: v_dual_mul_f32 v33, v60, v1
	v_mul_f32_e32 v1, v126, v1
	v_add_f32_e32 v23, v11, v15
	s_waitcnt lgkmcnt(2)
	v_dual_fmac_f32 v117, v130, v18 :: v_dual_mul_f32 v18, v132, v80
	v_add_f32_e32 v11, v28, v27
	v_sub_f32_e32 v28, v4, v58
	v_fma_f32 v60, v60, v0, -v1
	v_fma_f32 v1, -0.5, v141, v110
	v_add_f32_e32 v110, v142, v143
	v_fmac_f32_e32 v33, v126, v0
	v_fma_f32 v0, -0.5, v144, v54
	v_add_f32_e32 v122, v63, v60
	v_add_f32_e32 v144, v4, v58
	v_mul_f32_e32 v59, v51, v78
	s_delay_alu instid0(VALU_DEP_4)
	v_dual_mul_f32 v17, v127, v78 :: v_dual_fmamk_f32 v6, v138, 0xbf737871, v0
	v_add_f32_e32 v78, v119, v11
	v_sub_f32_e32 v140, v33, v31
	v_fma_f32 v2, -0.5, v123, v54
	v_dual_sub_f32 v123, v10, v31 :: v_dual_sub_f32 v148, v52, v57
	v_dual_sub_f32 v139, v13, v10 :: v_dual_sub_f32 v142, v63, v4
	v_dual_add_f32 v145, v10, v109 :: v_dual_fmac_f32 v0, 0x3f737871, v138
	v_dual_fmac_f32 v6, 0x3f167918, v137 :: v_dual_sub_f32 v21, v4, v63
	v_dual_fmamk_f32 v4, v137, 0xbf737871, v2 :: v_dual_sub_f32 v15, v31, v33
	v_dual_add_f32 v150, v44, v16 :: v_dual_add_f32 v141, v10, v31
	v_fmac_f32_e32 v2, 0x3f737871, v137
	s_delay_alu instid0(VALU_DEP_3) | instskip(SKIP_2) | instid1(VALU_DEP_4)
	v_dual_fmac_f32 v4, 0xbf167918, v138 :: v_dual_mul_f32 v125, v48, v80
	v_fma_f32 v10, -0.5, v144, v53
	v_sub_f32_e32 v144, v112, v61
	v_fmac_f32_e32 v2, 0x3f167918, v138
	v_add_f32_e32 v80, v9, v8
	v_fma_f32 v8, -0.5, v122, v53
	v_sub_f32_e32 v54, v58, v60
	v_sub_f32_e32 v126, v13, v33
	v_dual_mul_f32 v111, v49, v82 :: v_dual_add_f32 v82, v14, v15
	s_delay_alu instid0(VALU_DEP_4)
	v_fmamk_f32 v14, v123, 0xbf737871, v8
	v_fmac_f32_e32 v0, 0xbf167918, v137
	v_dual_add_f32 v19, v13, v33 :: v_dual_fmac_f32 v50, v116, v75
	v_sub_f32_e32 v143, v60, v58
	v_add_f32_e32 v54, v21, v54
	v_fma_f32 v11, -0.5, v141, v109
	v_sub_f32_e32 v128, v16, v57
	v_dual_add_f32 v130, v112, v121 :: v_dual_sub_f32 v147, v22, v16
	v_fmac_f32_e32 v4, 0x3e9e377a, v65
	v_dual_fmac_f32 v111, v129, v81 :: v_dual_fmac_f32 v0, 0x3e9e377a, v110
	v_dual_fmac_f32 v125, v132, v79 :: v_dual_fmac_f32 v14, 0xbf167918, v126
	v_add_f32_e32 v141, v22, v52
	v_fma_f32 v79, v48, v79, -v18
	v_fma_f32 v46, v46, v75, -v20
	s_delay_alu instid0(VALU_DEP_4)
	v_sub_f32_e32 v138, v125, v111
	s_waitcnt vmcnt(5)
	v_dual_mul_f32 v116, v40, v87 :: v_dual_add_f32 v119, v139, v140
	v_sub_f32_e32 v139, v16, v22
	v_add_f32_e32 v149, v16, v57
	v_add_f32_e32 v12, v12, v80
	s_waitcnt lgkmcnt(1)
	v_fmac_f32_e32 v116, v134, v86
	v_dual_fmamk_f32 v16, v126, 0x3f737871, v10 :: v_dual_fmac_f32 v59, v127, v77
	v_dual_fmac_f32 v6, 0x3e9e377a, v110 :: v_dual_add_f32 v21, v146, v63
	v_dual_add_f32 v146, v61, v117 :: v_dual_sub_f32 v27, v63, v60
	v_fma_f32 v9, -0.5, v19, v109
	v_sub_f32_e32 v53, v61, v112
	v_fma_f32 v75, v49, v81, -v76
	v_sub_f32_e32 v63, v117, v121
	v_fmamk_f32 v5, v64, 0x3f737871, v3
	v_dual_fmac_f32 v3, 0xbf737871, v64 :: v_dual_fmac_f32 v10, 0xbf737871, v126
	v_mul_f32_e32 v48, v134, v87
	v_dual_add_f32 v109, v142, v143 :: v_dual_sub_f32 v80, v111, v125
	v_sub_f32_e32 v142, v61, v117
	v_dual_add_f32 v61, v61, v114 :: v_dual_fmac_f32 v2, 0x3e9e377a, v65
	s_waitcnt vmcnt(4) lgkmcnt(0)
	v_dual_mul_f32 v76, v136, v91 :: v_dual_add_f32 v19, v13, v145
	v_dual_sub_f32 v145, v121, v117 :: v_dual_fmac_f32 v8, 0x3f737871, v123
	v_fma_f32 v77, v51, v77, -v17
	v_sub_f32_e32 v143, v112, v121
	v_fma_f32 v18, -0.5, v141, v44
	v_fma_f32 v20, -0.5, v149, v44
	v_add_f32_e32 v13, v55, v78
	v_dual_sub_f32 v132, v59, v125 :: v_dual_add_f32 v55, v21, v60
	v_dual_fmac_f32 v14, 0x3e9e377a, v54 :: v_dual_mul_f32 v129, v47, v89
	v_fma_f32 v21, -0.5, v146, v114
	v_dual_add_f32 v146, v43, v46 :: v_dual_fmamk_f32 v7, v62, 0x3f737871, v1
	v_dual_fmac_f32 v1, 0xbf737871, v62 :: v_dual_add_f32 v78, v147, v148
	v_sub_f32_e32 v122, v22, v52
	v_sub_f32_e32 v140, v57, v52
	v_dual_mul_f32 v81, v45, v85 :: v_dual_fmac_f32 v16, 0xbf167918, v123
	v_dual_mul_f32 v127, v42, v91 :: v_dual_fmac_f32 v8, 0x3f167918, v126
	;; [unrolled: 1-line block ×3, first 2 shown]
	v_dual_mul_f32 v51, v115, v85 :: v_dual_fmamk_f32 v44, v142, 0xbf737871, v18
	v_fmac_f32_e32 v7, 0xbf167918, v64
	v_fmac_f32_e32 v3, 0xbf167918, v62
	v_add_f32_e32 v60, v150, v22
	v_dual_fmac_f32 v5, 0x3f167918, v62 :: v_dual_add_f32 v22, v58, v55
	v_fmac_f32_e32 v129, v131, v88
	v_dual_fmac_f32 v1, 0x3f167918, v64 :: v_dual_add_f32 v64, v144, v145
	v_add_f32_e32 v144, v46, v75
	v_dual_add_f32 v62, v53, v63 :: v_dual_add_f32 v53, v112, v61
	v_fmac_f32_e32 v8, 0x3e9e377a, v54
	v_sub_f32_e32 v112, v75, v79
	v_dual_add_f32 v33, v33, v19 :: v_dual_fmac_f32 v18, 0x3f737871, v142
	v_fma_f32 v19, -0.5, v130, v114
	v_dual_add_f32 v114, v77, v79 :: v_dual_add_f32 v63, v139, v140
	v_fmac_f32_e32 v16, 0x3e9e377a, v109
	v_sub_f32_e32 v130, v50, v111
	v_sub_f32_e32 v140, v77, v46
	v_fma_f32 v40, v40, v86, -v48
	v_fma_f32 v86, v47, v88, -v49
	v_fmamk_f32 v17, v27, 0xbf737871, v11
	v_fmac_f32_e32 v11, 0x3f737871, v27
	v_fma_f32 v48, -0.5, v114, v43
	v_add_f32_e32 v139, v50, v111
	v_dual_fmac_f32 v44, 0xbf167918, v143 :: v_dual_fmac_f32 v81, v115, v84
	v_fma_f32 v84, v45, v84, -v51
	v_fmamk_f32 v15, v28, 0x3f737871, v9
	v_fmac_f32_e32 v9, 0xbf737871, v28
	v_sub_f32_e32 v87, v46, v75
	v_fmac_f32_e32 v17, 0x3f167918, v28
	v_dual_fmamk_f32 v47, v122, 0xbf737871, v21 :: v_dual_sub_f32 v54, v84, v40
	v_fmac_f32_e32 v11, 0xbf167918, v28
	v_add_f32_e32 v28, v60, v52
	v_fmamk_f32 v52, v130, 0xbf737871, v48
	v_fmac_f32_e32 v48, 0x3f737871, v130
	v_fma_f32 v51, -0.5, v139, v113
	v_dual_sub_f32 v91, v46, v77 :: v_dual_fmamk_f32 v46, v143, 0x3f737871, v20
	v_sub_f32_e32 v85, v77, v79
	v_dual_sub_f32 v61, v50, v59 :: v_dual_fmac_f32 v10, 0x3e9e377a, v109
	v_dual_sub_f32 v137, v59, v50 :: v_dual_fmac_f32 v20, 0xbf737871, v143
	v_add_f32_e32 v60, v146, v77
	v_add_f32_e32 v145, v50, v113
	v_fma_f32 v50, -0.5, v144, v43
	v_fmac_f32_e32 v46, 0xbf167918, v142
	v_fmamk_f32 v58, v85, 0xbf737871, v51
	v_fmac_f32_e32 v51, 0x3f737871, v85
	v_sub_f32_e32 v141, v79, v75
	v_fma_f32 v88, v42, v90, -v76
	v_fmac_f32_e32 v46, 0x3e9e377a, v78
	v_fmac_f32_e32 v20, 0x3f167918, v142
	v_dual_add_f32 v42, v57, v28 :: v_dual_fmamk_f32 v57, v132, 0x3f737871, v50
	v_dual_fmac_f32 v50, 0xbf737871, v132 :: v_dual_add_f32 v55, v137, v138
	v_fmac_f32_e32 v58, 0x3f167918, v87
	v_fmac_f32_e32 v51, 0xbf167918, v87
	v_dual_add_f32 v89, v59, v125 :: v_dual_fmac_f32 v18, 0x3f167918, v143
	v_fmac_f32_e32 v127, v136, v90
	v_dual_fmac_f32 v15, 0x3f167918, v27 :: v_dual_fmac_f32 v50, 0x3f167918, v130
	v_fmac_f32_e32 v3, 0x3e9e377a, v23
	v_dual_fmac_f32 v9, 0xbf167918, v27 :: v_dual_fmac_f32 v52, 0xbf167918, v132
	v_fmac_f32_e32 v5, 0x3e9e377a, v23
	v_dual_add_f32 v23, v31, v33 :: v_dual_fmac_f32 v48, 0x3f167918, v132
	v_add_f32_e32 v33, v91, v112
	v_add_f32_e32 v31, v61, v80
	;; [unrolled: 1-line block ×4, first 2 shown]
	v_fmac_f32_e32 v20, 0x3e9e377a, v78
	v_dual_add_f32 v76, v116, v129 :: v_dual_fmac_f32 v1, 0x3e9e377a, v118
	v_fmac_f32_e32 v58, 0x3e9e377a, v55
	v_fmac_f32_e32 v57, 0xbf167918, v130
	v_fmac_f32_e32 v51, 0x3e9e377a, v55
	v_dual_sub_f32 v55, v88, v86 :: v_dual_fmac_f32 v44, 0x3e9e377a, v63
	v_fmac_f32_e32 v18, 0x3e9e377a, v63
	v_fmac_f32_e32 v21, 0x3f737871, v122
	;; [unrolled: 1-line block ×3, first 2 shown]
	v_dual_fmac_f32 v50, 0x3e9e377a, v61 :: v_dual_add_f32 v61, v75, v28
	v_add_f32_e32 v28, v54, v55
	v_add_f32_e32 v54, v81, v127
	v_sub_f32_e32 v65, v81, v116
	v_fma_f32 v60, -0.5, v76, v68
	v_sub_f32_e32 v55, v129, v127
	v_fma_f32 v49, -0.5, v89, v113
	v_fma_f32 v76, -0.5, v54, v68
	v_sub_f32_e32 v54, v116, v81
	v_sub_f32_e32 v77, v84, v88
	v_fmac_f32_e32 v47, 0x3f167918, v128
	v_fmac_f32_e32 v48, 0x3e9e377a, v33
	v_add_f32_e32 v80, v40, v86
	v_dual_add_f32 v54, v54, v55 :: v_dual_fmac_f32 v21, 0xbf167918, v128
	v_fmamk_f32 v45, v128, 0x3f737871, v19
	v_fmac_f32_e32 v47, 0x3e9e377a, v64
	v_fmac_f32_e32 v19, 0xbf737871, v128
	v_add_f32_e32 v55, v84, v88
	v_fmac_f32_e32 v21, 0x3e9e377a, v64
	v_fmamk_f32 v64, v77, 0x3f737871, v60
	v_add_f32_e32 v27, v121, v53
	v_fmamk_f32 v53, v87, 0x3f737871, v49
	v_dual_fmac_f32 v49, 0xbf737871, v87 :: v_dual_fmac_f32 v60, 0xbf737871, v77
	v_fmac_f32_e32 v19, 0xbf167918, v122
	v_fma_f32 v75, -0.5, v55, v38
	s_delay_alu instid0(VALU_DEP_4) | instskip(NEXT) | instid1(VALU_DEP_4)
	v_fmac_f32_e32 v53, 0x3f167918, v85
	v_fmac_f32_e32 v49, 0xbf167918, v85
	v_sub_f32_e32 v79, v116, v129
	v_fmac_f32_e32 v15, 0x3e9e377a, v82
	v_fmac_f32_e32 v9, 0x3e9e377a, v82
	;; [unrolled: 1-line block ×4, first 2 shown]
	v_sub_f32_e32 v31, v40, v86
	v_add_co_ci_u32_e32 v25, vcc_lo, s9, v25, vcc_lo
	s_delay_alu instid0(VALU_DEP_2) | instskip(SKIP_4) | instid1(VALU_DEP_4)
	v_dual_fmac_f32 v60, 0xbf167918, v31 :: v_dual_add_f32 v59, v59, v145
	v_fmamk_f32 v78, v31, 0xbf737871, v76
	v_fmac_f32_e32 v76, 0x3f737871, v31
	v_dual_fmac_f32 v45, 0x3f167918, v122 :: v_dual_fmac_f32 v64, 0x3f167918, v31
	v_add_f32_e32 v43, v117, v27
	v_dual_add_f32 v27, v125, v59 :: v_dual_fmac_f32 v78, 0x3f167918, v77
	s_delay_alu instid0(VALU_DEP_4)
	v_fmac_f32_e32 v76, 0xbf167918, v77
	v_fmac_f32_e32 v7, 0x3e9e377a, v118
	;; [unrolled: 1-line block ×7, first 2 shown]
	ds_load_2addr_b32 v[54:55], v74 offset0:101 offset1:118
	s_waitcnt vmcnt(0)
	v_dual_mul_f32 v74, v39, v108 :: v_dual_fmac_f32 v19, 0x3e9e377a, v62
	v_add_f32_e32 v62, v111, v27
	v_sub_f32_e32 v27, v127, v129
	v_fma_f32 v59, -0.5, v80, v38
	v_fmamk_f32 v77, v79, 0x3f737871, v75
	v_dual_fmac_f32 v75, 0xbf737871, v79 :: v_dual_add_f32 v38, v38, v84
	s_delay_alu instid0(VALU_DEP_4) | instskip(SKIP_2) | instid1(VALU_DEP_3)
	v_add_f32_e32 v27, v65, v27
	v_dual_sub_f32 v65, v40, v84 :: v_dual_fmac_f32 v74, v133, v107
	v_mul_f32_e32 v84, v41, v103
	v_fmac_f32_e32 v64, 0x3e9e377a, v27
	v_dual_fmac_f32 v52, 0x3e9e377a, v33 :: v_dual_sub_f32 v33, v81, v127
	v_dual_fmac_f32 v60, 0x3e9e377a, v27 :: v_dual_add_f32 v27, v81, v68
	v_sub_f32_e32 v68, v86, v88
	s_delay_alu instid0(VALU_DEP_3) | instskip(SKIP_2) | instid1(VALU_DEP_4)
	v_dual_fmac_f32 v84, v135, v102 :: v_dual_fmamk_f32 v63, v33, 0xbf737871, v59
	v_fmac_f32_e32 v59, 0x3f737871, v33
	v_fmac_f32_e32 v77, 0xbf167918, v33
	v_add_f32_e32 v65, v65, v68
	v_fmac_f32_e32 v75, 0x3f167918, v33
	v_dual_add_f32 v33, v38, v40 :: v_dual_mul_f32 v40, v135, v103
	v_fmac_f32_e32 v63, 0xbf167918, v79
	s_delay_alu instid0(VALU_DEP_4) | instskip(SKIP_1) | instid1(VALU_DEP_4)
	v_fmac_f32_e32 v77, 0x3e9e377a, v65
	v_dual_add_f32 v31, v116, v27 :: v_dual_mul_f32 v68, v30, v106
	v_fma_f32 v85, v41, v102, -v40
	v_fmac_f32_e32 v75, 0x3e9e377a, v65
	v_mul_f32_e32 v65, v36, v101
	v_fmac_f32_e32 v63, 0x3e9e377a, v28
	v_add_f32_e32 v33, v33, v86
	s_waitcnt lgkmcnt(0)
	s_delay_alu instid0(VALU_DEP_3) | instskip(SKIP_1) | instid1(VALU_DEP_2)
	v_fmac_f32_e32 v65, v55, v100
	v_mul_f32_e32 v55, v55, v101
	v_dual_sub_f32 v90, v74, v65 :: v_dual_fmac_f32 v59, 0x3f167918, v79
	v_mul_f32_e32 v79, v133, v108
	s_delay_alu instid0(VALU_DEP_3)
	v_fma_f32 v36, v36, v100, -v55
	v_sub_f32_e32 v40, v84, v65
	v_sub_f32_e32 v100, v65, v84
	v_fmac_f32_e32 v59, 0x3e9e377a, v28
	ds_load_2addr_b32 v[27:28], v120 offset0:119 offset1:136
	v_fma_f32 v86, v39, v107, -v79
	v_dual_sub_f32 v79, v85, v36 :: v_dual_sub_f32 v102, v36, v85
	s_waitcnt lgkmcnt(0)
	s_delay_alu instid0(VALU_DEP_2) | instskip(SKIP_1) | instid1(VALU_DEP_2)
	v_dual_sub_f32 v87, v86, v36 :: v_dual_fmac_f32 v68, v28, v105
	v_mul_f32_e32 v28, v28, v106
	v_add_f32_e32 v80, v68, v84
	s_delay_alu instid0(VALU_DEP_2) | instskip(SKIP_2) | instid1(VALU_DEP_4)
	v_fma_f32 v28, v30, v105, -v28
	v_add_f32_e32 v30, v74, v65
	v_dual_sub_f32 v38, v68, v74 :: v_dual_sub_f32 v91, v74, v68
	v_fma_f32 v80, -0.5, v80, v67
	s_delay_alu instid0(VALU_DEP_4) | instskip(NEXT) | instid1(VALU_DEP_4)
	v_sub_f32_e32 v55, v28, v85
	v_fma_f32 v39, -0.5, v30, v67
	s_delay_alu instid0(VALU_DEP_4) | instskip(NEXT) | instid1(VALU_DEP_4)
	v_dual_add_f32 v30, v88, v33 :: v_dual_add_f32 v33, v38, v40
	v_fmamk_f32 v82, v87, 0xbf737871, v80
	s_delay_alu instid0(VALU_DEP_3) | instskip(SKIP_1) | instid1(VALU_DEP_3)
	v_dual_fmac_f32 v80, 0x3f737871, v87 :: v_dual_fmamk_f32 v41, v55, 0x3f737871, v39
	v_dual_fmac_f32 v39, 0xbf737871, v55 :: v_dual_sub_f32 v40, v28, v86
	v_fmac_f32_e32 v82, 0x3f167918, v55
	s_delay_alu instid0(VALU_DEP_3)
	v_fmac_f32_e32 v80, 0xbf167918, v55
	v_add_f32_e32 v55, v68, v67
	v_fmac_f32_e32 v41, 0x3f167918, v87
	v_fmac_f32_e32 v39, 0xbf167918, v87
	v_add_f32_e32 v89, v40, v79
	v_add_f32_e32 v79, v28, v85
	;; [unrolled: 1-line block ×3, first 2 shown]
	v_sub_f32_e32 v101, v86, v28
	v_dual_fmac_f32 v41, 0x3e9e377a, v33 :: v_dual_add_f32 v28, v37, v28
	v_fmac_f32_e32 v39, 0x3e9e377a, v33
	s_delay_alu instid0(VALU_DEP_4) | instskip(SKIP_1) | instid1(VALU_DEP_4)
	v_dual_add_f32 v33, v65, v55 :: v_dual_add_f32 v38, v86, v36
	v_sub_f32_e32 v88, v68, v84
	v_add_f32_e32 v28, v28, v86
	ds_load_b32 v68, v104
	v_add_f32_e32 v33, v84, v33
	v_mul_f32_e32 v84, v35, v93
	v_fma_f32 v38, -0.5, v38, v37
	v_fma_f32 v79, -0.5, v79, v37
	v_mul_f32_e32 v55, v29, v97
	v_dual_mul_f32 v67, v34, v99 :: v_dual_add_f32 v36, v28, v36
	v_mul_f32_e32 v28, v66, v99
	v_mul_f32_e32 v37, v54, v93
	v_dual_fmac_f32 v84, v54, v92 :: v_dual_add_f32 v31, v129, v31
	v_fmamk_f32 v40, v88, 0xbf737871, v38
	v_fmac_f32_e32 v38, 0x3f737871, v88
	v_fmac_f32_e32 v55, v27, v96
	v_dual_fmac_f32 v67, v66, v98 :: v_dual_mul_f32 v74, v32, v95
	v_mul_f32_e32 v27, v27, v97
	v_mul_f32_e32 v65, v124, v95
	v_fma_f32 v54, v34, v98, -v28
	v_fma_f32 v86, v35, v92, -v37
	v_dual_add_f32 v31, v127, v31 :: v_dual_fmac_f32 v74, v124, v94
	v_fmac_f32_e32 v40, 0xbf167918, v90
	v_fmac_f32_e32 v38, 0x3f167918, v90
	v_fma_f32 v27, v29, v96, -v27
	v_fma_f32 v87, v32, v94, -v65
	v_add_f32_e32 v28, v67, v84
	v_add_f32_e32 v32, v54, v86
	v_fmamk_f32 v81, v90, 0x3f737871, v79
	v_fmac_f32_e32 v40, 0x3e9e377a, v89
	v_fmac_f32_e32 v79, 0xbf737871, v90
	;; [unrolled: 1-line block ×3, first 2 shown]
	s_waitcnt lgkmcnt(0)
	v_fma_f32 v29, -0.5, v28, v68
	v_fma_f32 v28, -0.5, v32, v83
	v_sub_f32_e32 v89, v55, v74
	v_sub_f32_e32 v32, v27, v54
	v_dual_sub_f32 v66, v87, v86 :: v_dual_fmac_f32 v81, 0xbf167918, v88
	v_sub_f32_e32 v37, v55, v67
	s_delay_alu instid0(VALU_DEP_4) | instskip(NEXT) | instid1(VALU_DEP_3)
	v_dual_sub_f32 v65, v74, v84 :: v_dual_fmamk_f32 v34, v89, 0xbf737871, v28
	v_dual_add_f32 v93, v32, v66 :: v_dual_add_f32 v32, v85, v36
	v_add_f32_e32 v36, v27, v87
	v_sub_f32_e32 v94, v54, v27
	v_fmac_f32_e32 v28, 0x3f737871, v89
	v_dual_fmac_f32 v79, 0x3f167918, v88 :: v_dual_sub_f32 v88, v27, v87
	v_dual_add_f32 v27, v83, v27 :: v_dual_sub_f32 v90, v54, v86
	v_dual_add_f32 v92, v37, v65 :: v_dual_add_f32 v37, v55, v74
	v_sub_f32_e32 v65, v67, v55
	s_delay_alu instid0(VALU_DEP_3)
	v_add_f32_e32 v54, v27, v54
	v_add_f32_e32 v91, v91, v100
	;; [unrolled: 1-line block ×3, first 2 shown]
	v_fma_f32 v37, -0.5, v37, v68
	v_sub_f32_e32 v85, v84, v74
	v_add_f32_e32 v54, v54, v86
	v_fmac_f32_e32 v82, 0x3e9e377a, v91
	v_dual_fmac_f32 v80, 0x3e9e377a, v91 :: v_dual_sub_f32 v91, v67, v84
	v_fma_f32 v36, -0.5, v36, v83
	v_mov_b32_e32 v27, v56
	v_dual_add_f32 v55, v67, v55 :: v_dual_fmamk_f32 v66, v90, 0xbf737871, v37
	v_sub_f32_e32 v95, v86, v87
	v_add_f32_e32 v85, v65, v85
	v_fmamk_f32 v65, v91, 0x3f737871, v36
	v_fmac_f32_e32 v37, 0x3f737871, v90
	v_fmac_f32_e32 v36, 0xbf737871, v91
	v_lshlrev_b64 v[26:27], 3, v[26:27]
	v_mul_hi_u32 v67, 0x44d72045, v72
	v_add_f32_e32 v55, v84, v55
	v_dual_fmamk_f32 v35, v88, 0x3f737871, v29 :: v_dual_add_f32 v94, v94, v95
	v_fmac_f32_e32 v37, 0xbf167918, v88
	v_fmac_f32_e32 v36, 0x3f167918, v89
	;; [unrolled: 1-line block ×3, first 2 shown]
	v_add_co_u32 v24, vcc_lo, v24, v26
	v_dual_add_f32 v55, v74, v55 :: v_dual_add_f32 v54, v87, v54
	v_add_co_ci_u32_e32 v25, vcc_lo, v25, v27, vcc_lo
	v_lshrrev_b32_e32 v26, 5, v67
	v_dual_add_f32 v100, v101, v102 :: v_dual_fmac_f32 v37, 0x3e9e377a, v85
	v_fmac_f32_e32 v36, 0x3e9e377a, v94
	v_fmac_f32_e32 v29, 0xbf167918, v90
	;; [unrolled: 1-line block ×3, first 2 shown]
	v_mul_hi_u32 v27, 0x44d72045, v73
	s_clause 0x1
	global_store_b64 v[24:25], v[54:55], off
	global_store_b64 v[24:25], v[36:37], off offset:1904
	v_mul_u32_u24_e32 v55, 0x1dc, v26
	v_dual_fmac_f32 v81, 0x3e9e377a, v100 :: v_dual_fmac_f32 v28, 0x3e9e377a, v93
	v_fmac_f32_e32 v29, 0x3e9e377a, v92
	s_clause 0x2
	global_store_b64 v[24:25], v[32:33], off offset:136
	global_store_b64 v[24:25], v[28:29], off offset:952
	;; [unrolled: 1-line block ×3, first 2 shown]
	v_lshrrev_b32_e32 v28, 5, v27
	v_lshlrev_b64 v[26:27], 3, v[55:56]
	v_fmac_f32_e32 v35, 0x3f167918, v90
	v_fmac_f32_e32 v34, 0xbf167918, v91
	;; [unrolled: 1-line block ×4, first 2 shown]
	v_mul_hi_u32 v32, 0x44d72045, v71
	v_add_co_u32 v26, vcc_lo, v24, v26
	v_fmac_f32_e32 v79, 0x3e9e377a, v100
	v_dual_fmac_f32 v35, 0x3e9e377a, v92 :: v_dual_fmac_f32 v34, 0x3e9e377a, v93
	v_add_co_ci_u32_e32 v27, vcc_lo, v25, v27, vcc_lo
	v_dual_fmac_f32 v66, 0x3e9e377a, v85 :: v_dual_fmac_f32 v65, 0x3e9e377a, v94
	v_mul_u32_u24_e32 v55, 0x1dc, v28
	s_clause 0x9
	global_store_b64 v[24:25], v[79:80], off offset:2040
	global_store_b64 v[24:25], v[65:66], off offset:2856
	;; [unrolled: 1-line block ×10, first 2 shown]
	v_lshrrev_b32_e32 v30, 5, v32
	v_lshlrev_b64 v[28:29], 3, v[55:56]
	v_mul_hi_u32 v32, 0x44d72045, v70
	s_delay_alu instid0(VALU_DEP_3) | instskip(NEXT) | instid1(VALU_DEP_3)
	v_mul_u32_u24_e32 v55, 0x1dc, v30
	v_add_co_u32 v26, vcc_lo, v24, v28
	s_delay_alu instid0(VALU_DEP_4) | instskip(NEXT) | instid1(VALU_DEP_3)
	v_add_co_ci_u32_e32 v27, vcc_lo, v25, v29, vcc_lo
	v_lshlrev_b64 v[30:31], 3, v[55:56]
	s_delay_alu instid0(VALU_DEP_3) | instskip(NEXT) | instid1(VALU_DEP_3)
	v_add_co_u32 v28, vcc_lo, 0x198, v26
	v_add_co_ci_u32_e32 v29, vcc_lo, 0, v27, vcc_lo
	s_clause 0x4
	global_store_b64 v[26:27], v[61:62], off offset:408
	global_store_b64 v[26:27], v[48:49], off offset:1360
	global_store_b64 v[26:27], v[50:51], off offset:2312
	global_store_b64 v[26:27], v[57:58], off offset:3264
	global_store_b64 v[28:29], v[52:53], off offset:3808
	v_lshrrev_b32_e32 v28, 5, v32
	v_add_co_u32 v26, vcc_lo, v24, v30
	v_mul_hi_u32 v32, 0x44d72045, v69
	v_add_co_ci_u32_e32 v27, vcc_lo, v25, v31, vcc_lo
	s_delay_alu instid0(VALU_DEP_4) | instskip(NEXT) | instid1(VALU_DEP_4)
	v_mul_u32_u24_e32 v55, 0x1dc, v28
	v_add_co_u32 v28, vcc_lo, 0x220, v26
	s_delay_alu instid0(VALU_DEP_3)
	v_add_co_ci_u32_e32 v29, vcc_lo, 0, v27, vcc_lo
	s_clause 0x4
	global_store_b64 v[26:27], v[42:43], off offset:544
	global_store_b64 v[26:27], v[18:19], off offset:1496
	;; [unrolled: 1-line block ×5, first 2 shown]
	v_lshrrev_b32_e32 v20, 5, v32
	v_lshlrev_b64 v[30:31], 3, v[55:56]
	s_delay_alu instid0(VALU_DEP_2) | instskip(NEXT) | instid1(VALU_DEP_2)
	v_mul_u32_u24_e32 v55, 0x1dc, v20
	v_add_co_u32 v18, vcc_lo, v24, v30
	s_delay_alu instid0(VALU_DEP_3) | instskip(NEXT) | instid1(VALU_DEP_3)
	v_add_co_ci_u32_e32 v19, vcc_lo, v25, v31, vcc_lo
	v_lshlrev_b64 v[26:27], 3, v[55:56]
	s_delay_alu instid0(VALU_DEP_3) | instskip(NEXT) | instid1(VALU_DEP_3)
	v_add_co_u32 v20, vcc_lo, 0x2a8, v18
	v_add_co_ci_u32_e32 v21, vcc_lo, 0, v19, vcc_lo
	s_clause 0x3
	global_store_b64 v[18:19], v[22:23], off offset:680
	global_store_b64 v[18:19], v[8:9], off offset:1632
	;; [unrolled: 1-line block ×4, first 2 shown]
	v_add_co_u32 v8, vcc_lo, v24, v26
	v_add_co_ci_u32_e32 v9, vcc_lo, v25, v27, vcc_lo
	global_store_b64 v[20:21], v[14:15], off offset:3808
	v_add_co_u32 v10, vcc_lo, 0x330, v8
	v_add_co_ci_u32_e32 v11, vcc_lo, 0, v9, vcc_lo
	s_clause 0x4
	global_store_b64 v[8:9], v[12:13], off offset:816
	global_store_b64 v[8:9], v[2:3], off offset:1768
	;; [unrolled: 1-line block ×5, first 2 shown]
.LBB0_20:
	s_nop 0
	s_sendmsg sendmsg(MSG_DEALLOC_VGPRS)
	s_endpgm
	.section	.rodata,"a",@progbits
	.p2align	6, 0x0
	.amdhsa_kernel fft_rtc_fwd_len595_factors_7_17_5_wgs_51_tpt_17_halfLds_sp_ip_CI_unitstride_sbrr_dirReg
		.amdhsa_group_segment_fixed_size 0
		.amdhsa_private_segment_fixed_size 0
		.amdhsa_kernarg_size 88
		.amdhsa_user_sgpr_count 15
		.amdhsa_user_sgpr_dispatch_ptr 0
		.amdhsa_user_sgpr_queue_ptr 0
		.amdhsa_user_sgpr_kernarg_segment_ptr 1
		.amdhsa_user_sgpr_dispatch_id 0
		.amdhsa_user_sgpr_private_segment_size 0
		.amdhsa_wavefront_size32 1
		.amdhsa_uses_dynamic_stack 0
		.amdhsa_enable_private_segment 0
		.amdhsa_system_sgpr_workgroup_id_x 1
		.amdhsa_system_sgpr_workgroup_id_y 0
		.amdhsa_system_sgpr_workgroup_id_z 0
		.amdhsa_system_sgpr_workgroup_info 0
		.amdhsa_system_vgpr_workitem_id 0
		.amdhsa_next_free_vgpr 211
		.amdhsa_next_free_sgpr 21
		.amdhsa_reserve_vcc 1
		.amdhsa_float_round_mode_32 0
		.amdhsa_float_round_mode_16_64 0
		.amdhsa_float_denorm_mode_32 3
		.amdhsa_float_denorm_mode_16_64 3
		.amdhsa_dx10_clamp 1
		.amdhsa_ieee_mode 1
		.amdhsa_fp16_overflow 0
		.amdhsa_workgroup_processor_mode 1
		.amdhsa_memory_ordered 1
		.amdhsa_forward_progress 0
		.amdhsa_shared_vgpr_count 0
		.amdhsa_exception_fp_ieee_invalid_op 0
		.amdhsa_exception_fp_denorm_src 0
		.amdhsa_exception_fp_ieee_div_zero 0
		.amdhsa_exception_fp_ieee_overflow 0
		.amdhsa_exception_fp_ieee_underflow 0
		.amdhsa_exception_fp_ieee_inexact 0
		.amdhsa_exception_int_div_zero 0
	.end_amdhsa_kernel
	.text
.Lfunc_end0:
	.size	fft_rtc_fwd_len595_factors_7_17_5_wgs_51_tpt_17_halfLds_sp_ip_CI_unitstride_sbrr_dirReg, .Lfunc_end0-fft_rtc_fwd_len595_factors_7_17_5_wgs_51_tpt_17_halfLds_sp_ip_CI_unitstride_sbrr_dirReg
                                        ; -- End function
	.section	.AMDGPU.csdata,"",@progbits
; Kernel info:
; codeLenInByte = 28020
; NumSgprs: 23
; NumVgprs: 211
; ScratchSize: 0
; MemoryBound: 0
; FloatMode: 240
; IeeeMode: 1
; LDSByteSize: 0 bytes/workgroup (compile time only)
; SGPRBlocks: 2
; VGPRBlocks: 26
; NumSGPRsForWavesPerEU: 23
; NumVGPRsForWavesPerEU: 211
; Occupancy: 7
; WaveLimiterHint : 1
; COMPUTE_PGM_RSRC2:SCRATCH_EN: 0
; COMPUTE_PGM_RSRC2:USER_SGPR: 15
; COMPUTE_PGM_RSRC2:TRAP_HANDLER: 0
; COMPUTE_PGM_RSRC2:TGID_X_EN: 1
; COMPUTE_PGM_RSRC2:TGID_Y_EN: 0
; COMPUTE_PGM_RSRC2:TGID_Z_EN: 0
; COMPUTE_PGM_RSRC2:TIDIG_COMP_CNT: 0
	.text
	.p2alignl 7, 3214868480
	.fill 96, 4, 3214868480
	.type	__hip_cuid_d897a3e50b9f8fb7,@object ; @__hip_cuid_d897a3e50b9f8fb7
	.section	.bss,"aw",@nobits
	.globl	__hip_cuid_d897a3e50b9f8fb7
__hip_cuid_d897a3e50b9f8fb7:
	.byte	0                               ; 0x0
	.size	__hip_cuid_d897a3e50b9f8fb7, 1

	.ident	"AMD clang version 19.0.0git (https://github.com/RadeonOpenCompute/llvm-project roc-6.4.0 25133 c7fe45cf4b819c5991fe208aaa96edf142730f1d)"
	.section	".note.GNU-stack","",@progbits
	.addrsig
	.addrsig_sym __hip_cuid_d897a3e50b9f8fb7
	.amdgpu_metadata
---
amdhsa.kernels:
  - .args:
      - .actual_access:  read_only
        .address_space:  global
        .offset:         0
        .size:           8
        .value_kind:     global_buffer
      - .offset:         8
        .size:           8
        .value_kind:     by_value
      - .actual_access:  read_only
        .address_space:  global
        .offset:         16
        .size:           8
        .value_kind:     global_buffer
      - .actual_access:  read_only
        .address_space:  global
        .offset:         24
        .size:           8
        .value_kind:     global_buffer
      - .offset:         32
        .size:           8
        .value_kind:     by_value
      - .actual_access:  read_only
        .address_space:  global
        .offset:         40
        .size:           8
        .value_kind:     global_buffer
      - .actual_access:  read_only
        .address_space:  global
        .offset:         48
        .size:           8
        .value_kind:     global_buffer
      - .offset:         56
        .size:           4
        .value_kind:     by_value
      - .actual_access:  read_only
        .address_space:  global
        .offset:         64
        .size:           8
        .value_kind:     global_buffer
      - .actual_access:  read_only
        .address_space:  global
        .offset:         72
        .size:           8
        .value_kind:     global_buffer
      - .address_space:  global
        .offset:         80
        .size:           8
        .value_kind:     global_buffer
    .group_segment_fixed_size: 0
    .kernarg_segment_align: 8
    .kernarg_segment_size: 88
    .language:       OpenCL C
    .language_version:
      - 2
      - 0
    .max_flat_workgroup_size: 51
    .name:           fft_rtc_fwd_len595_factors_7_17_5_wgs_51_tpt_17_halfLds_sp_ip_CI_unitstride_sbrr_dirReg
    .private_segment_fixed_size: 0
    .sgpr_count:     23
    .sgpr_spill_count: 0
    .symbol:         fft_rtc_fwd_len595_factors_7_17_5_wgs_51_tpt_17_halfLds_sp_ip_CI_unitstride_sbrr_dirReg.kd
    .uniform_work_group_size: 1
    .uses_dynamic_stack: false
    .vgpr_count:     211
    .vgpr_spill_count: 0
    .wavefront_size: 32
    .workgroup_processor_mode: 1
amdhsa.target:   amdgcn-amd-amdhsa--gfx1100
amdhsa.version:
  - 1
  - 2
...

	.end_amdgpu_metadata
